;; amdgpu-corpus repo=pytorch/pytorch kind=compiled arch=gfx90a opt=O3
	.text
	.amdgcn_target "amdgcn-amd-amdhsa--gfx90a"
	.amdhsa_code_object_version 6
	.section	.text._ZN2at6native12_GLOBAL__N_112renormRowsL1IdEEvPT_ll,"axG",@progbits,_ZN2at6native12_GLOBAL__N_112renormRowsL1IdEEvPT_ll,comdat
	.globl	_ZN2at6native12_GLOBAL__N_112renormRowsL1IdEEvPT_ll ; -- Begin function _ZN2at6native12_GLOBAL__N_112renormRowsL1IdEEvPT_ll
	.p2align	8
	.type	_ZN2at6native12_GLOBAL__N_112renormRowsL1IdEEvPT_ll,@function
_ZN2at6native12_GLOBAL__N_112renormRowsL1IdEEvPT_ll: ; @_ZN2at6native12_GLOBAL__N_112renormRowsL1IdEEvPT_ll
; %bb.0:
	s_load_dwordx4 s[12:15], s[4:5], 0x0
	s_mov_b32 s7, 0
	s_waitcnt lgkmcnt(0)
	v_pk_mov_b32 v[2:3], s[14:15], s[14:15] op_sel:[0,1]
	v_cmp_ge_i64_e32 vcc, s[6:7], v[2:3]
	s_cbranch_vccnz .LBB0_34
; %bb.1:
	s_load_dwordx2 s[16:17], s[4:5], 0x10
	v_and_b32_e32 v2, 63, v0
	v_mov_b32_e32 v1, 0
	v_cmp_eq_u32_e64 s[2:3], 0, v2
	v_lshrrev_b32_e32 v4, 3, v0
	v_lshl_add_u32 v12, v2, 3, 0
	v_lshlrev_b32_e32 v2, 3, v0
	s_add_u32 s18, s4, 24
	s_waitcnt lgkmcnt(0)
	v_cmp_le_i64_e32 vcc, s[16:17], v[0:1]
	v_mov_b32_e32 v3, s13
	v_add_co_u32_e64 v2, s[10:11], s12, v2
	v_add_u32_e32 v13, 0, v4
	v_mbcnt_lo_u32_b32 v4, -1, 0
	s_addc_u32 s19, s5, 0
	v_cmp_gt_i64_e64 s[0:1], s[16:17], v[0:1]
	v_cmp_gt_u32_e64 s[4:5], 64, v0
	v_cmp_eq_u32_e64 s[8:9], 0, v0
	s_lshl_b64 s[20:21], s[16:17], 3
	v_addc_co_u32_e64 v3, s[10:11], 0, v3, s[10:11]
	s_mov_b64 s[22:23], 0
	s_xor_b64 s[24:25], vcc, -1
	v_lshlrev_b32_e32 v14, 3, v0
	v_mbcnt_hi_u32_b32 v15, -1, v4
	s_mov_b64 s[28:29], s[6:7]
                                        ; implicit-def: $sgpr26_sgpr27
                                        ; implicit-def: $sgpr10_sgpr11
                                        ; implicit-def: $sgpr30_sgpr31
                                        ; implicit-def: $sgpr34_sgpr35
                                        ; implicit-def: $vgpr4_vgpr5
	s_branch .LBB0_5
.LBB0_2:                                ;   in Loop: Header=BB0_5 Depth=1
	s_or_b64 exec, exec, s[44:45]
	s_add_u32 s28, s28, s6
	s_addc_u32 s29, s29, 0
	v_pk_mov_b32 v[6:7], s[14:15], s[14:15] op_sel:[0,1]
	v_cmp_ge_i64_e32 vcc, s[28:29], v[6:7]
	s_andn2_b64 s[40:41], s[40:41], exec
	s_andn2_b64 s[38:39], s[38:39], exec
	s_orn2_b64 s[44:45], vcc, exec
.LBB0_3:                                ;   in Loop: Header=BB0_5 Depth=1
	s_or_b64 exec, exec, s[42:43]
	s_andn2_b64 s[34:35], s[34:35], exec
	s_and_b64 s[40:41], s[40:41], exec
	s_andn2_b64 s[30:31], s[30:31], exec
	s_and_b64 s[38:39], s[38:39], exec
	s_or_b64 s[34:35], s[34:35], s[40:41]
	s_or_b64 s[30:31], s[30:31], s[38:39]
	s_orn2_b64 s[40:41], s[44:45], exec
.LBB0_4:                                ;   in Loop: Header=BB0_5 Depth=1
	s_or_b64 exec, exec, s[36:37]
	s_and_b64 s[36:37], exec, s[40:41]
	s_or_b64 s[22:23], s[36:37], s[22:23]
	s_andn2_b64 s[10:11], s[10:11], exec
	s_and_b64 s[36:37], s[34:35], exec
	s_or_b64 s[10:11], s[10:11], s[36:37]
	s_andn2_b64 s[26:27], s[26:27], exec
	s_and_b64 s[36:37], s[30:31], exec
	s_or_b64 s[26:27], s[26:27], s[36:37]
	s_andn2_b64 exec, exec, s[22:23]
	s_cbranch_execz .LBB0_30
.LBB0_5:                                ; =>This Loop Header: Depth=1
                                        ;     Child Loop BB0_10 Depth 2
                                        ;     Child Loop BB0_29 Depth 2
	s_waitcnt lgkmcnt(0)
	v_pk_mov_b32 v[6:7], 0, 0
	s_mov_b64 s[38:39], -1
                                        ; implicit-def: $sgpr42_sgpr43
                                        ; implicit-def: $sgpr44_sgpr45
	s_and_saveexec_b64 s[36:37], s[0:1]
	s_cbranch_execz .LBB0_15
; %bb.6:                                ;   in Loop: Header=BB0_5 Depth=1
	s_mul_i32 s6, s28, s17
	s_mul_hi_u32 s33, s28, s16
	s_add_i32 s6, s33, s6
	s_mul_i32 s33, s29, s16
	s_add_i32 s39, s6, s33
	s_mul_i32 s38, s28, s16
	s_lshl_b64 s[38:39], s[38:39], 3
	s_add_u32 s38, s12, s38
	s_addc_u32 s39, s13, s39
	global_load_dwordx2 v[4:5], v14, s[38:39]
	s_mov_b64 s[40:41], 0
	s_mov_b64 s[42:43], -1
	v_pk_mov_b32 v[6:7], 0, 0
	s_mov_b64 s[46:47], 0
	s_waitcnt vmcnt(0)
	v_cmp_ngt_f64_e32 vcc, 0, v[4:5]
	s_and_saveexec_b64 s[38:39], vcc
	s_cbranch_execz .LBB0_14
; %bb.7:                                ;   in Loop: Header=BB0_5 Depth=1
	s_load_dword s6, s[18:19], 0xc
	v_add_f64 v[6:7], v[4:5], 0
	s_mov_b64 s[48:49], 0
	s_mov_b64 s[44:45], -1
	s_waitcnt lgkmcnt(0)
	s_and_b32 s6, s6, 0xffff
	v_add_co_u32_e32 v8, vcc, s6, v0
	v_addc_co_u32_e64 v9, s[40:41], 0, 0, vcc
	v_cmp_gt_i64_e32 vcc, s[16:17], v[8:9]
	s_mov_b64 s[40:41], -1
	s_and_saveexec_b64 s[42:43], vcc
	s_cbranch_execz .LBB0_13
; %bb.8:                                ;   in Loop: Header=BB0_5 Depth=1
	s_mul_i32 s33, s20, s29
	s_mul_hi_u32 s44, s20, s28
	s_add_i32 s33, s44, s33
	s_mul_i32 s44, s21, s28
	s_add_i32 s33, s33, s44
	s_mul_i32 s44, s20, s28
	s_add_u32 s44, s12, s44
	v_lshlrev_b32_e32 v4, 3, v8
	s_addc_u32 s33, s13, s33
	v_mov_b32_e32 v5, s33
	v_add_co_u32_e32 v10, vcc, s44, v4
	v_addc_co_u32_e32 v11, vcc, 0, v5, vcc
	s_lshl_b32 s33, s6, 3
	s_mov_b32 s54, s7
	s_mov_b64 s[44:45], 0
                                        ; implicit-def: $sgpr46_sgpr47
                                        ; implicit-def: $sgpr50_sgpr51
                                        ; implicit-def: $sgpr48_sgpr49
	s_branch .LBB0_10
.LBB0_9:                                ;   in Loop: Header=BB0_10 Depth=2
	s_or_b64 exec, exec, s[52:53]
	s_xor_b64 s[52:53], s[48:49], -1
	s_and_b64 s[56:57], exec, s[50:51]
	s_or_b64 s[44:45], s[56:57], s[44:45]
	s_andn2_b64 s[46:47], s[46:47], exec
	s_and_b64 s[52:53], s[52:53], exec
	s_or_b64 s[46:47], s[46:47], s[52:53]
	s_andn2_b64 exec, exec, s[44:45]
	s_cbranch_execz .LBB0_12
.LBB0_10:                               ;   Parent Loop BB0_5 Depth=1
                                        ; =>  This Inner Loop Header: Depth=2
	global_load_dwordx2 v[4:5], v[10:11], off
	s_or_b64 s[48:49], s[48:49], exec
	s_or_b64 s[50:51], s[50:51], exec
	s_waitcnt vmcnt(0)
	v_cmp_ngt_f64_e32 vcc, 0, v[4:5]
	s_and_saveexec_b64 s[52:53], vcc
	s_cbranch_execz .LBB0_9
; %bb.11:                               ;   in Loop: Header=BB0_10 Depth=2
	v_mov_b32_e32 v16, s7
	v_add_co_u32_e32 v8, vcc, s6, v8
	v_addc_co_u32_e32 v9, vcc, v9, v16, vcc
	v_mov_b32_e32 v16, s54
	v_add_co_u32_e32 v10, vcc, s33, v10
	v_addc_co_u32_e32 v11, vcc, v11, v16, vcc
	v_cmp_le_i64_e32 vcc, s[16:17], v[8:9]
	s_andn2_b64 s[50:51], s[50:51], exec
	s_and_b64 s[56:57], vcc, exec
	v_add_f64 v[6:7], v[6:7], v[4:5]
	s_andn2_b64 s[48:49], s[48:49], exec
	s_or_b64 s[50:51], s[50:51], s[56:57]
	s_branch .LBB0_9
.LBB0_12:                               ;   in Loop: Header=BB0_5 Depth=1
	s_or_b64 exec, exec, s[44:45]
	s_mov_b64 s[48:49], 0
	s_orn2_b64 s[44:45], s[46:47], exec
.LBB0_13:                               ;   in Loop: Header=BB0_5 Depth=1
	s_or_b64 exec, exec, s[42:43]
	s_and_b64 s[46:47], s[48:49], exec
	s_orn2_b64 s[42:43], s[40:41], exec
	s_and_b64 s[40:41], s[44:45], exec
.LBB0_14:                               ;   in Loop: Header=BB0_5 Depth=1
	s_or_b64 exec, exec, s[38:39]
	s_and_b64 s[44:45], s[46:47], exec
	s_and_b64 s[42:43], s[42:43], exec
	s_orn2_b64 s[38:39], s[40:41], exec
.LBB0_15:                               ;   in Loop: Header=BB0_5 Depth=1
	s_or_b64 exec, exec, s[36:37]
	s_andn2_b64 s[34:35], s[34:35], exec
	s_and_b64 s[36:37], s[44:45], exec
	s_or_b64 s[34:35], s[34:35], s[36:37]
	s_andn2_b64 s[30:31], s[30:31], exec
	s_and_b64 s[36:37], s[42:43], exec
	s_mov_b64 s[40:41], -1
	s_or_b64 s[30:31], s[30:31], s[36:37]
	s_and_saveexec_b64 s[36:37], s[38:39]
	s_cbranch_execz .LBB0_4
; %bb.16:                               ;   in Loop: Header=BB0_5 Depth=1
	v_and_b32_e32 v19, 63, v15
	v_cmp_gt_u32_e32 vcc, 32, v19
	v_cndmask_b32_e64 v8, 0, 1, vcc
	v_lshlrev_b32_e32 v8, 5, v8
	v_add_lshl_u32 v10, v8, v15, 2
	ds_bpermute_b32 v8, v10, v6
	ds_bpermute_b32 v9, v10, v7
	v_cmp_gt_u32_e32 vcc, 48, v19
	v_cndmask_b32_e64 v11, 0, 1, vcc
	v_cmp_gt_u32_e32 vcc, 56, v19
	s_waitcnt lgkmcnt(0)
	v_add_f64 v[6:7], v[6:7], v[8:9]
	v_lshlrev_b32_e32 v8, 4, v11
	v_add_lshl_u32 v11, v8, v15, 2
	ds_bpermute_b32 v8, v11, v6
	ds_bpermute_b32 v9, v11, v7
	s_barrier
	s_waitcnt lgkmcnt(0)
	v_add_f64 v[6:7], v[6:7], v[8:9]
	v_cndmask_b32_e64 v8, 0, 1, vcc
	v_lshlrev_b32_e32 v8, 3, v8
	v_add_lshl_u32 v16, v8, v15, 2
	ds_bpermute_b32 v8, v16, v6
	ds_bpermute_b32 v9, v16, v7
	v_cmp_gt_u32_e32 vcc, 60, v19
	s_waitcnt lgkmcnt(0)
	v_add_f64 v[6:7], v[6:7], v[8:9]
	v_cndmask_b32_e64 v8, 0, 1, vcc
	v_lshlrev_b32_e32 v8, 2, v8
	v_add_lshl_u32 v17, v8, v15, 2
	ds_bpermute_b32 v8, v17, v6
	ds_bpermute_b32 v9, v17, v7
	v_cmp_gt_u32_e32 vcc, 62, v19
	s_waitcnt lgkmcnt(0)
	v_add_f64 v[6:7], v[6:7], v[8:9]
	v_cndmask_b32_e64 v8, 0, 1, vcc
	v_lshlrev_b32_e32 v8, 1, v8
	v_add_lshl_u32 v18, v8, v15, 2
	ds_bpermute_b32 v8, v18, v6
	ds_bpermute_b32 v9, v18, v7
	v_cmp_ne_u32_e32 vcc, 63, v19
	s_waitcnt lgkmcnt(0)
	v_add_f64 v[6:7], v[6:7], v[8:9]
	v_addc_co_u32_e32 v8, vcc, 0, v15, vcc
	v_lshlrev_b32_e32 v19, 2, v8
	ds_bpermute_b32 v8, v19, v6
	ds_bpermute_b32 v9, v19, v7
	s_and_saveexec_b64 s[38:39], s[2:3]
	s_cbranch_execz .LBB0_18
; %bb.17:                               ;   in Loop: Header=BB0_5 Depth=1
	s_waitcnt lgkmcnt(0)
	v_add_f64 v[6:7], v[6:7], v[8:9]
	ds_write_b64 v13, v[6:7]
.LBB0_18:                               ;   in Loop: Header=BB0_5 Depth=1
	s_or_b64 exec, exec, s[38:39]
	s_waitcnt lgkmcnt(0)
	s_barrier
	s_load_dword s33, s[18:19], 0xc
	s_load_dword s6, s[18:19], 0x0
	v_pk_mov_b32 v[6:7], 0, 0
	s_waitcnt lgkmcnt(0)
	s_bfe_u32 s38, s33, 0xa0006
	v_cmp_gt_u32_e32 vcc, s38, v0
	s_and_saveexec_b64 s[38:39], vcc
	s_cbranch_execz .LBB0_20
; %bb.19:                               ;   in Loop: Header=BB0_5 Depth=1
	ds_read_b64 v[6:7], v12
.LBB0_20:                               ;   in Loop: Header=BB0_5 Depth=1
	s_or_b64 exec, exec, s[38:39]
	s_and_saveexec_b64 s[38:39], s[4:5]
	s_cbranch_execz .LBB0_22
; %bb.21:                               ;   in Loop: Header=BB0_5 Depth=1
	s_waitcnt lgkmcnt(0)
	ds_bpermute_b32 v8, v10, v6
	ds_bpermute_b32 v9, v10, v7
	s_waitcnt lgkmcnt(0)
	v_add_f64 v[6:7], v[6:7], v[8:9]
	ds_bpermute_b32 v8, v11, v6
	ds_bpermute_b32 v9, v11, v7
	s_waitcnt lgkmcnt(0)
	v_add_f64 v[6:7], v[6:7], v[8:9]
	;; [unrolled: 4-line block ×6, first 2 shown]
.LBB0_22:                               ;   in Loop: Header=BB0_5 Depth=1
	s_or_b64 exec, exec, s[38:39]
	s_mov_b64 s[44:45], -1
	s_mov_b64 s[46:47], -1
                                        ; implicit-def: $sgpr40_sgpr41
                                        ; implicit-def: $sgpr38_sgpr39
	s_and_saveexec_b64 s[42:43], s[8:9]
	s_cbranch_execz .LBB0_26
; %bb.23:                               ;   in Loop: Header=BB0_5 Depth=1
	v_cmp_ngt_f64_e32 vcc, 0, v[4:5]
	s_mov_b64 s[38:39], 0
	s_mov_b64 s[46:47], 0
	s_and_saveexec_b64 s[40:41], vcc
	s_cbranch_execz .LBB0_25
; %bb.24:                               ;   in Loop: Header=BB0_5 Depth=1
	s_mov_b64 s[46:47], exec
	s_waitcnt lgkmcnt(0)
	ds_write_b64 v1, v[6:7]
.LBB0_25:                               ;   in Loop: Header=BB0_5 Depth=1
	s_or_b64 exec, exec, s[40:41]
	s_mov_b64 s[40:41], -1
	s_orn2_b64 s[46:47], s[46:47], exec
.LBB0_26:                               ;   in Loop: Header=BB0_5 Depth=1
	s_or_b64 exec, exec, s[42:43]
	s_and_saveexec_b64 s[42:43], s[46:47]
	s_cbranch_execz .LBB0_3
; %bb.27:                               ;   in Loop: Header=BB0_5 Depth=1
	s_waitcnt lgkmcnt(0)
	s_barrier
	ds_read_b64 v[6:7], v1
	s_waitcnt lgkmcnt(0)
	v_cmp_lt_f64_e32 vcc, 0, v[6:7]
	s_and_b64 s[46:47], vcc, s[24:25]
	s_and_saveexec_b64 s[44:45], s[46:47]
	s_cbranch_execz .LBB0_2
; %bb.28:                               ;   in Loop: Header=BB0_5 Depth=1
	s_mul_i32 s46, s21, s28
	s_mul_i32 s47, s20, s29
	v_mov_b32_e32 v8, s28
	s_and_b32 s33, s33, 0xffff
	s_add_i32 s48, s47, s46
	v_mad_u64_u32 v[8:9], s[46:47], s20, v8, v[2:3]
	v_add_u32_e32 v9, s48, v9
	s_lshl_b32 s48, s33, 3
	s_mov_b32 s49, s7
	s_mov_b64 s[46:47], 0
	v_pk_mov_b32 v[10:11], v[0:1], v[0:1] op_sel:[0,1]
.LBB0_29:                               ;   Parent Loop BB0_5 Depth=1
                                        ; =>  This Inner Loop Header: Depth=2
	global_load_dwordx2 v[16:17], v[8:9], off
	v_mov_b32_e32 v18, s7
	v_add_co_u32_e32 v10, vcc, s33, v10
	v_addc_co_u32_e32 v11, vcc, v11, v18, vcc
	v_cmp_le_i64_e32 vcc, s[16:17], v[10:11]
	s_or_b64 s[46:47], vcc, s[46:47]
	v_mov_b32_e32 v26, s49
	s_waitcnt vmcnt(0)
	v_div_scale_f64 v[18:19], s[50:51], v[6:7], v[6:7], v[16:17]
	v_rcp_f64_e32 v[20:21], v[18:19]
	v_div_scale_f64 v[22:23], vcc, v[16:17], v[6:7], v[16:17]
	v_fma_f64 v[24:25], -v[18:19], v[20:21], 1.0
	v_fmac_f64_e32 v[20:21], v[20:21], v[24:25]
	v_fma_f64 v[24:25], -v[18:19], v[20:21], 1.0
	v_fmac_f64_e32 v[20:21], v[20:21], v[24:25]
	v_mul_f64 v[24:25], v[22:23], v[20:21]
	v_fma_f64 v[18:19], -v[18:19], v[24:25], v[22:23]
	v_div_fmas_f64 v[18:19], v[18:19], v[20:21], v[24:25]
	v_div_fixup_f64 v[16:17], v[18:19], v[6:7], v[16:17]
	global_store_dwordx2 v[8:9], v[16:17], off
	v_add_co_u32_e32 v8, vcc, s48, v8
	v_addc_co_u32_e32 v9, vcc, v9, v26, vcc
	s_andn2_b64 exec, exec, s[46:47]
	s_cbranch_execnz .LBB0_29
	s_branch .LBB0_2
.LBB0_30:
	s_or_b64 exec, exec, s[22:23]
	s_xor_b64 s[2:3], s[26:27], -1
	s_mov_b64 s[0:1], 0
	s_and_saveexec_b64 s[4:5], s[2:3]
	s_xor_b64 s[2:3], exec, s[4:5]
	s_cbranch_execnz .LBB0_35
; %bb.31:
	s_andn2_saveexec_b64 s[2:3], s[2:3]
	s_cbranch_execnz .LBB0_37
.LBB0_32:
	s_or_b64 exec, exec, s[2:3]
	s_and_saveexec_b64 s[2:3], s[0:1]
.LBB0_33:
	; divergent unreachable
.LBB0_34:
	s_endpgm
.LBB0_35:
	s_and_saveexec_b64 s[4:5], s[10:11]
	s_xor_b64 s[4:5], exec, s[4:5]
	s_cbranch_execnz .LBB0_38
.LBB0_36:
	s_or_b64 exec, exec, s[4:5]
	s_and_b64 s[0:1], s[0:1], exec
	s_andn2_saveexec_b64 s[2:3], s[2:3]
	s_cbranch_execz .LBB0_32
.LBB0_37:
	s_or_b64 s[0:1], s[0:1], exec
	s_trap 2
	s_or_b64 exec, exec, s[2:3]
	s_and_saveexec_b64 s[2:3], s[0:1]
	s_cbranch_execnz .LBB0_33
	s_branch .LBB0_34
.LBB0_38:
	s_mov_b64 s[0:1], exec
	s_trap 2
	s_branch .LBB0_36
	.section	.rodata,"a",@progbits
	.p2align	6, 0x0
	.amdhsa_kernel _ZN2at6native12_GLOBAL__N_112renormRowsL1IdEEvPT_ll
		.amdhsa_group_segment_fixed_size 0
		.amdhsa_private_segment_fixed_size 0
		.amdhsa_kernarg_size 280
		.amdhsa_user_sgpr_count 6
		.amdhsa_user_sgpr_private_segment_buffer 1
		.amdhsa_user_sgpr_dispatch_ptr 0
		.amdhsa_user_sgpr_queue_ptr 0
		.amdhsa_user_sgpr_kernarg_segment_ptr 1
		.amdhsa_user_sgpr_dispatch_id 0
		.amdhsa_user_sgpr_flat_scratch_init 0
		.amdhsa_user_sgpr_kernarg_preload_length 0
		.amdhsa_user_sgpr_kernarg_preload_offset 0
		.amdhsa_user_sgpr_private_segment_size 0
		.amdhsa_uses_dynamic_stack 0
		.amdhsa_system_sgpr_private_segment_wavefront_offset 0
		.amdhsa_system_sgpr_workgroup_id_x 1
		.amdhsa_system_sgpr_workgroup_id_y 0
		.amdhsa_system_sgpr_workgroup_id_z 0
		.amdhsa_system_sgpr_workgroup_info 0
		.amdhsa_system_vgpr_workitem_id 0
		.amdhsa_next_free_vgpr 27
		.amdhsa_next_free_sgpr 58
		.amdhsa_accum_offset 28
		.amdhsa_reserve_vcc 1
		.amdhsa_reserve_flat_scratch 0
		.amdhsa_float_round_mode_32 0
		.amdhsa_float_round_mode_16_64 0
		.amdhsa_float_denorm_mode_32 3
		.amdhsa_float_denorm_mode_16_64 3
		.amdhsa_dx10_clamp 1
		.amdhsa_ieee_mode 1
		.amdhsa_fp16_overflow 0
		.amdhsa_tg_split 0
		.amdhsa_exception_fp_ieee_invalid_op 0
		.amdhsa_exception_fp_denorm_src 0
		.amdhsa_exception_fp_ieee_div_zero 0
		.amdhsa_exception_fp_ieee_overflow 0
		.amdhsa_exception_fp_ieee_underflow 0
		.amdhsa_exception_fp_ieee_inexact 0
		.amdhsa_exception_int_div_zero 0
	.end_amdhsa_kernel
	.section	.text._ZN2at6native12_GLOBAL__N_112renormRowsL1IdEEvPT_ll,"axG",@progbits,_ZN2at6native12_GLOBAL__N_112renormRowsL1IdEEvPT_ll,comdat
.Lfunc_end0:
	.size	_ZN2at6native12_GLOBAL__N_112renormRowsL1IdEEvPT_ll, .Lfunc_end0-_ZN2at6native12_GLOBAL__N_112renormRowsL1IdEEvPT_ll
                                        ; -- End function
	.section	.AMDGPU.csdata,"",@progbits
; Kernel info:
; codeLenInByte = 1724
; NumSgprs: 62
; NumVgprs: 27
; NumAgprs: 0
; TotalNumVgprs: 27
; ScratchSize: 0
; MemoryBound: 0
; FloatMode: 240
; IeeeMode: 1
; LDSByteSize: 0 bytes/workgroup (compile time only)
; SGPRBlocks: 7
; VGPRBlocks: 3
; NumSGPRsForWavesPerEU: 62
; NumVGPRsForWavesPerEU: 27
; AccumOffset: 28
; Occupancy: 8
; WaveLimiterHint : 0
; COMPUTE_PGM_RSRC2:SCRATCH_EN: 0
; COMPUTE_PGM_RSRC2:USER_SGPR: 6
; COMPUTE_PGM_RSRC2:TRAP_HANDLER: 0
; COMPUTE_PGM_RSRC2:TGID_X_EN: 1
; COMPUTE_PGM_RSRC2:TGID_Y_EN: 0
; COMPUTE_PGM_RSRC2:TGID_Z_EN: 0
; COMPUTE_PGM_RSRC2:TIDIG_COMP_CNT: 0
; COMPUTE_PGM_RSRC3_GFX90A:ACCUM_OFFSET: 6
; COMPUTE_PGM_RSRC3_GFX90A:TG_SPLIT: 0
	.section	.text._ZN2at6native12_GLOBAL__N_112renormRowsL1IfEEvPT_ll,"axG",@progbits,_ZN2at6native12_GLOBAL__N_112renormRowsL1IfEEvPT_ll,comdat
	.globl	_ZN2at6native12_GLOBAL__N_112renormRowsL1IfEEvPT_ll ; -- Begin function _ZN2at6native12_GLOBAL__N_112renormRowsL1IfEEvPT_ll
	.p2align	8
	.type	_ZN2at6native12_GLOBAL__N_112renormRowsL1IfEEvPT_ll,@function
_ZN2at6native12_GLOBAL__N_112renormRowsL1IfEEvPT_ll: ; @_ZN2at6native12_GLOBAL__N_112renormRowsL1IfEEvPT_ll
; %bb.0:
	s_load_dwordx4 s[16:19], s[4:5], 0x0
	s_mov_b32 s7, 0
	s_waitcnt lgkmcnt(0)
	v_pk_mov_b32 v[2:3], s[18:19], s[18:19] op_sel:[0,1]
	v_cmp_ge_i64_e32 vcc, s[6:7], v[2:3]
	s_cbranch_vccnz .LBB1_53
; %bb.1:
	s_load_dwordx2 s[14:15], s[4:5], 0x10
	v_and_b32_e32 v3, 63, v0
	v_lshlrev_b32_e32 v4, 2, v0
	v_mov_b32_e32 v2, 0
	v_cmp_eq_u32_e64 s[2:3], 0, v3
	v_lshl_add_u32 v22, v3, 2, 0
	v_mov_b32_e32 v3, s17
	v_add_co_u32_e64 v6, s[10:11], s16, v4
	v_mov_b32_e32 v1, v2
	v_addc_co_u32_e64 v7, s[10:11], 0, v3, s[10:11]
	v_mbcnt_lo_u32_b32 v3, -1, 0
	s_add_u32 s20, s4, 24
	v_lshrrev_b32_e32 v8, 4, v0
	s_waitcnt lgkmcnt(0)
	v_cmp_le_i64_e32 vcc, s[14:15], v[0:1]
	v_mbcnt_hi_u32_b32 v25, -1, v3
	s_addc_u32 s21, s5, 0
	v_cmp_gt_i64_e64 s[0:1], s[14:15], v[0:1]
	v_cmp_gt_u32_e64 s[4:5], 64, v0
	v_cmp_eq_u32_e64 s[8:9], 0, v0
	v_mov_b32_e32 v5, v2
	s_lshl_b64 s[26:27], s[14:15], 2
	s_mov_b64 s[24:25], 0
	v_add_u32_e32 v23, 0, v8
	s_xor_b64 s[28:29], vcc, -1
	v_lshlrev_b32_e32 v24, 2, v0
	v_and_b32_e32 v26, 63, v25
	v_mov_b32_e32 v27, 0x4f800000
	s_mov_b64 s[34:35], s[6:7]
                                        ; implicit-def: $sgpr30_sgpr31
                                        ; implicit-def: $sgpr22_sgpr23
                                        ; implicit-def: $sgpr36_sgpr37
                                        ; implicit-def: $sgpr38_sgpr39
                                        ; implicit-def: $vgpr28
	s_branch .LBB1_5
.LBB1_2:                                ;   in Loop: Header=BB1_5 Depth=1
	s_or_b64 exec, exec, s[48:49]
	s_add_u32 s34, s34, s6
	s_addc_u32 s35, s35, 0
	v_pk_mov_b32 v[8:9], s[18:19], s[18:19] op_sel:[0,1]
	v_cmp_ge_i64_e32 vcc, s[34:35], v[8:9]
	s_andn2_b64 s[44:45], s[44:45], exec
	s_andn2_b64 s[42:43], s[42:43], exec
	s_orn2_b64 s[10:11], vcc, exec
.LBB1_3:                                ;   in Loop: Header=BB1_5 Depth=1
	s_or_b64 exec, exec, s[46:47]
	s_andn2_b64 s[12:13], s[38:39], exec
	s_and_b64 s[38:39], s[44:45], exec
	s_or_b64 s[38:39], s[12:13], s[38:39]
	s_andn2_b64 s[12:13], s[36:37], exec
	s_and_b64 s[36:37], s[42:43], exec
	s_or_b64 s[36:37], s[12:13], s[36:37]
	s_orn2_b64 s[10:11], s[10:11], exec
.LBB1_4:                                ;   in Loop: Header=BB1_5 Depth=1
	s_or_b64 exec, exec, s[40:41]
	s_and_b64 s[10:11], exec, s[10:11]
	s_or_b64 s[24:25], s[10:11], s[24:25]
	s_andn2_b64 s[10:11], s[22:23], exec
	s_and_b64 s[12:13], s[38:39], exec
	s_or_b64 s[22:23], s[10:11], s[12:13]
	s_andn2_b64 s[10:11], s[30:31], exec
	s_and_b64 s[12:13], s[36:37], exec
	s_or_b64 s[30:31], s[10:11], s[12:13]
	s_andn2_b64 exec, exec, s[24:25]
	s_cbranch_execz .LBB1_49
.LBB1_5:                                ; =>This Loop Header: Depth=1
                                        ;     Child Loop BB1_10 Depth 2
                                        ;     Child Loop BB1_41 Depth 2
	;; [unrolled: 1-line block ×3, first 2 shown]
	s_mov_b64 s[12:13], -1
	v_mov_b32_e32 v3, 0
                                        ; implicit-def: $sgpr42_sgpr43
                                        ; implicit-def: $sgpr44_sgpr45
	s_and_saveexec_b64 s[10:11], s[0:1]
	s_cbranch_execz .LBB1_15
; %bb.6:                                ;   in Loop: Header=BB1_5 Depth=1
	s_mul_i32 s6, s34, s15
	s_mul_hi_u32 s12, s34, s14
	s_add_i32 s6, s12, s6
	s_mul_i32 s12, s35, s14
	s_add_i32 s13, s6, s12
	s_mul_i32 s12, s34, s14
	s_lshl_b64 s[12:13], s[12:13], 2
	s_add_u32 s12, s16, s12
	s_addc_u32 s13, s17, s13
	global_load_dword v28, v24, s[12:13]
	s_mov_b64 s[42:43], -1
	s_mov_b64 s[40:41], 0
	v_mov_b32_e32 v3, 0
	s_mov_b64 s[46:47], 0
	s_waitcnt vmcnt(0)
	v_cmp_ngt_f32_e32 vcc, 0, v28
	s_and_saveexec_b64 s[12:13], vcc
	s_cbranch_execz .LBB1_14
; %bb.7:                                ;   in Loop: Header=BB1_5 Depth=1
	s_load_dword s6, s[20:21], 0xc
	v_add_f32_e32 v3, 0, v28
	s_mov_b64 s[48:49], 0
	s_mov_b64 s[44:45], -1
	s_waitcnt lgkmcnt(0)
	s_and_b32 s6, s6, 0xffff
	v_add_co_u32_e32 v8, vcc, s6, v0
	v_addc_co_u32_e64 v9, s[40:41], 0, 0, vcc
	v_cmp_gt_i64_e32 vcc, s[14:15], v[8:9]
	s_mov_b64 s[40:41], -1
	s_and_saveexec_b64 s[42:43], vcc
	s_cbranch_execz .LBB1_13
; %bb.8:                                ;   in Loop: Header=BB1_5 Depth=1
	s_mul_i32 s33, s26, s35
	s_mul_hi_u32 s44, s26, s34
	s_add_i32 s33, s44, s33
	s_mul_i32 s44, s27, s34
	s_add_i32 s33, s33, s44
	s_mul_i32 s44, s26, s34
	s_add_u32 s44, s16, s44
	v_lshlrev_b32_e32 v10, 2, v8
	s_addc_u32 s33, s17, s33
	v_mov_b32_e32 v11, s33
	v_add_co_u32_e32 v10, vcc, s44, v10
	v_addc_co_u32_e32 v11, vcc, 0, v11, vcc
	s_lshl_b32 s33, s6, 2
	s_mov_b32 s54, s7
	s_mov_b64 s[44:45], 0
                                        ; implicit-def: $sgpr46_sgpr47
                                        ; implicit-def: $sgpr50_sgpr51
                                        ; implicit-def: $sgpr48_sgpr49
	s_branch .LBB1_10
.LBB1_9:                                ;   in Loop: Header=BB1_10 Depth=2
	s_or_b64 exec, exec, s[52:53]
	s_xor_b64 s[52:53], s[48:49], -1
	s_and_b64 s[56:57], exec, s[50:51]
	s_or_b64 s[44:45], s[56:57], s[44:45]
	s_andn2_b64 s[46:47], s[46:47], exec
	s_and_b64 s[52:53], s[52:53], exec
	s_or_b64 s[46:47], s[46:47], s[52:53]
	s_andn2_b64 exec, exec, s[44:45]
	s_cbranch_execz .LBB1_12
.LBB1_10:                               ;   Parent Loop BB1_5 Depth=1
                                        ; =>  This Inner Loop Header: Depth=2
	global_load_dword v28, v[10:11], off
	s_or_b64 s[48:49], s[48:49], exec
	s_or_b64 s[50:51], s[50:51], exec
	s_waitcnt vmcnt(0)
	v_cmp_ngt_f32_e32 vcc, 0, v28
	s_and_saveexec_b64 s[52:53], vcc
	s_cbranch_execz .LBB1_9
; %bb.11:                               ;   in Loop: Header=BB1_10 Depth=2
	v_mov_b32_e32 v12, s7
	v_add_co_u32_e32 v8, vcc, s6, v8
	v_addc_co_u32_e32 v9, vcc, v9, v12, vcc
	v_mov_b32_e32 v12, s54
	v_add_co_u32_e32 v10, vcc, s33, v10
	v_addc_co_u32_e32 v11, vcc, v11, v12, vcc
	v_cmp_le_i64_e32 vcc, s[14:15], v[8:9]
	s_andn2_b64 s[50:51], s[50:51], exec
	s_and_b64 s[56:57], vcc, exec
	v_add_f32_e32 v3, v3, v28
	s_andn2_b64 s[48:49], s[48:49], exec
	s_or_b64 s[50:51], s[50:51], s[56:57]
	s_branch .LBB1_9
.LBB1_12:                               ;   in Loop: Header=BB1_5 Depth=1
	s_or_b64 exec, exec, s[44:45]
	s_mov_b64 s[48:49], 0
	s_orn2_b64 s[44:45], s[46:47], exec
.LBB1_13:                               ;   in Loop: Header=BB1_5 Depth=1
	s_or_b64 exec, exec, s[42:43]
	s_and_b64 s[46:47], s[48:49], exec
	s_orn2_b64 s[42:43], s[40:41], exec
	s_and_b64 s[40:41], s[44:45], exec
.LBB1_14:                               ;   in Loop: Header=BB1_5 Depth=1
	s_or_b64 exec, exec, s[12:13]
	s_and_b64 s[44:45], s[46:47], exec
	s_and_b64 s[42:43], s[42:43], exec
	s_orn2_b64 s[12:13], s[40:41], exec
.LBB1_15:                               ;   in Loop: Header=BB1_5 Depth=1
	s_or_b64 exec, exec, s[10:11]
	s_andn2_b64 s[38:39], s[38:39], exec
	s_and_b64 s[40:41], s[44:45], exec
	s_or_b64 s[38:39], s[38:39], s[40:41]
	s_andn2_b64 s[36:37], s[36:37], exec
	s_and_b64 s[40:41], s[42:43], exec
	s_mov_b64 s[10:11], -1
	s_or_b64 s[36:37], s[36:37], s[40:41]
	s_and_saveexec_b64 s[40:41], s[12:13]
	s_cbranch_execz .LBB1_4
; %bb.16:                               ;   in Loop: Header=BB1_5 Depth=1
	v_cmp_gt_u32_e32 vcc, 32, v26
	v_cndmask_b32_e64 v8, 0, 1, vcc
	v_lshlrev_b32_e32 v8, 5, v8
	v_add_lshl_u32 v8, v8, v25, 2
	ds_bpermute_b32 v9, v8, v3
	v_cmp_gt_u32_e32 vcc, 48, v26
	v_cndmask_b32_e64 v10, 0, 1, vcc
	v_lshlrev_b32_e32 v10, 4, v10
	v_cmp_gt_u32_e32 vcc, 56, v26
	s_waitcnt lgkmcnt(0)
	v_add_f32_e32 v9, v3, v9
	v_add_lshl_u32 v3, v10, v25, 2
	ds_bpermute_b32 v10, v3, v9
	v_cndmask_b32_e64 v11, 0, 1, vcc
	v_lshlrev_b32_e32 v11, 3, v11
	v_cmp_gt_u32_e32 vcc, 60, v26
	v_cndmask_b32_e64 v12, 0, 1, vcc
	s_waitcnt lgkmcnt(0)
	v_add_f32_e32 v10, v9, v10
	v_add_lshl_u32 v9, v11, v25, 2
	ds_bpermute_b32 v11, v9, v10
	v_lshlrev_b32_e32 v12, 2, v12
	v_cmp_gt_u32_e32 vcc, 62, v26
	v_cndmask_b32_e64 v13, 0, 1, vcc
	v_lshlrev_b32_e32 v13, 1, v13
	s_waitcnt lgkmcnt(0)
	v_add_f32_e32 v11, v10, v11
	v_add_lshl_u32 v10, v12, v25, 2
	ds_bpermute_b32 v12, v10, v11
	v_cmp_ne_u32_e32 vcc, 63, v26
	v_addc_co_u32_e32 v14, vcc, 0, v25, vcc
	s_waitcnt lgkmcnt(0)
	v_add_f32_e32 v12, v11, v12
	v_add_lshl_u32 v11, v13, v25, 2
	ds_bpermute_b32 v13, v11, v12
	s_barrier
	s_waitcnt lgkmcnt(0)
	v_add_f32_e32 v13, v12, v13
	v_lshlrev_b32_e32 v12, 2, v14
	ds_bpermute_b32 v14, v12, v13
	s_and_saveexec_b64 s[10:11], s[2:3]
	s_cbranch_execz .LBB1_18
; %bb.17:                               ;   in Loop: Header=BB1_5 Depth=1
	s_waitcnt lgkmcnt(0)
	v_add_f32_e32 v13, v13, v14
	ds_write_b32 v23, v13
.LBB1_18:                               ;   in Loop: Header=BB1_5 Depth=1
	s_or_b64 exec, exec, s[10:11]
	s_waitcnt lgkmcnt(0)
	s_barrier
	s_load_dword s33, s[20:21], 0xc
	s_load_dword s6, s[20:21], 0x0
	v_mov_b32_e32 v13, 0
	s_waitcnt lgkmcnt(0)
	s_bfe_u32 s10, s33, 0xa0006
	v_cmp_gt_u32_e32 vcc, s10, v0
	s_and_saveexec_b64 s[10:11], vcc
	s_cbranch_execz .LBB1_20
; %bb.19:                               ;   in Loop: Header=BB1_5 Depth=1
	ds_read_b32 v13, v22
.LBB1_20:                               ;   in Loop: Header=BB1_5 Depth=1
	s_or_b64 exec, exec, s[10:11]
	s_and_saveexec_b64 s[10:11], s[4:5]
	s_cbranch_execz .LBB1_22
; %bb.21:                               ;   in Loop: Header=BB1_5 Depth=1
	s_waitcnt lgkmcnt(0)
	ds_bpermute_b32 v8, v8, v13
	s_waitcnt lgkmcnt(0)
	v_add_f32_e32 v8, v13, v8
	ds_bpermute_b32 v3, v3, v8
	s_waitcnt lgkmcnt(0)
	v_add_f32_e32 v3, v8, v3
	;; [unrolled: 3-line block ×6, first 2 shown]
.LBB1_22:                               ;   in Loop: Header=BB1_5 Depth=1
	s_or_b64 exec, exec, s[10:11]
	s_mov_b64 s[10:11], -1
	s_mov_b64 s[48:49], -1
                                        ; implicit-def: $sgpr44_sgpr45
                                        ; implicit-def: $sgpr42_sgpr43
	s_and_saveexec_b64 s[12:13], s[8:9]
	s_cbranch_execz .LBB1_26
; %bb.23:                               ;   in Loop: Header=BB1_5 Depth=1
	v_cmp_ngt_f32_e32 vcc, 0, v28
	s_mov_b64 s[42:43], 0
	s_mov_b64 s[46:47], 0
	s_and_saveexec_b64 s[44:45], vcc
	s_cbranch_execz .LBB1_25
; %bb.24:                               ;   in Loop: Header=BB1_5 Depth=1
	s_mov_b64 s[46:47], exec
	s_waitcnt lgkmcnt(0)
	ds_write_b32 v2, v13
.LBB1_25:                               ;   in Loop: Header=BB1_5 Depth=1
	s_or_b64 exec, exec, s[44:45]
	s_mov_b64 s[44:45], -1
	s_orn2_b64 s[48:49], s[46:47], exec
.LBB1_26:                               ;   in Loop: Header=BB1_5 Depth=1
	s_or_b64 exec, exec, s[12:13]
                                        ; kill: def $vgpr3 killed $sgpr0 killed $exec
	s_and_saveexec_b64 s[46:47], s[48:49]
	s_cbranch_execz .LBB1_3
; %bb.27:                               ;   in Loop: Header=BB1_5 Depth=1
	s_waitcnt lgkmcnt(0)
	s_barrier
	ds_read_b32 v29, v2
	s_waitcnt lgkmcnt(0)
	v_cmp_lt_f32_e32 vcc, 0, v29
	s_and_b64 s[10:11], vcc, s[28:29]
	s_and_saveexec_b64 s[48:49], s[10:11]
	s_cbranch_execz .LBB1_2
; %bb.28:                               ;   in Loop: Header=BB1_5 Depth=1
	s_and_b32 s33, s33, 0xffff
	v_add_co_u32_e32 v12, vcc, s33, v0
	v_addc_co_u32_e64 v13, s[10:11], 0, 0, vcc
	v_mov_b32_e32 v3, s15
	v_cmp_gt_i64_e64 s[10:11], s[14:15], v[12:13]
	v_cndmask_b32_e64 v9, v13, v3, s[10:11]
	v_mov_b32_e32 v3, s14
	v_cndmask_b32_e64 v14, v12, v3, s[10:11]
	v_cndmask_b32_e64 v8, 0, 1, s[10:11]
	v_sub_co_u32_e32 v3, vcc, v14, v8
	v_subbrev_co_u32_e32 v10, vcc, 0, v9, vcc
	v_sub_co_u32_e32 v15, vcc, v3, v12
	v_subb_co_u32_e32 v3, vcc, v10, v13, vcc
	v_cmp_ne_u64_e32 vcc, 0, v[2:3]
                                        ; implicit-def: $vgpr10_vgpr11
	s_and_saveexec_b64 s[12:13], vcc
	s_xor_b64 s[50:51], exec, s[12:13]
	s_cbranch_execz .LBB1_30
; %bb.29:                               ;   in Loop: Header=BB1_5 Depth=1
	v_cvt_f32_u32_e32 v10, s33
	s_sub_u32 s12, 0, s33
	s_subb_u32 s13, 0, 0
	v_mac_f32_e32 v10, 0, v27
	v_rcp_f32_e32 v10, v10
	v_mul_f32_e32 v10, 0x5f7ffffc, v10
	v_mul_f32_e32 v11, 0x2f800000, v10
	v_trunc_f32_e32 v11, v11
	v_mac_f32_e32 v10, 0xcf800000, v11
	v_cvt_u32_f32_e32 v11, v11
	v_cvt_u32_f32_e32 v10, v10
	v_mul_lo_u32 v16, s12, v11
	v_mul_hi_u32 v18, s12, v10
	v_mul_lo_u32 v17, s13, v10
	v_add_u32_e32 v16, v18, v16
	v_mul_lo_u32 v19, s12, v10
	v_add_u32_e32 v16, v16, v17
	v_mul_hi_u32 v18, v10, v19
	v_mul_lo_u32 v20, v10, v16
	v_mul_hi_u32 v17, v10, v16
	v_add_co_u32_e32 v18, vcc, v18, v20
	v_addc_co_u32_e32 v17, vcc, 0, v17, vcc
	v_mul_hi_u32 v21, v11, v19
	v_mul_lo_u32 v19, v11, v19
	v_add_co_u32_e32 v18, vcc, v18, v19
	v_mul_hi_u32 v20, v11, v16
	v_addc_co_u32_e32 v17, vcc, v17, v21, vcc
	v_addc_co_u32_e32 v18, vcc, 0, v20, vcc
	v_mul_lo_u32 v16, v11, v16
	v_add_co_u32_e32 v16, vcc, v17, v16
	v_addc_co_u32_e32 v17, vcc, 0, v18, vcc
	v_add_co_u32_e32 v10, vcc, v10, v16
	v_addc_co_u32_e32 v11, vcc, v11, v17, vcc
	v_mul_lo_u32 v16, s12, v11
	v_mul_hi_u32 v17, s12, v10
	v_add_u32_e32 v16, v17, v16
	v_mul_lo_u32 v17, s13, v10
	v_add_u32_e32 v16, v16, v17
	v_mul_lo_u32 v18, s12, v10
	v_mul_hi_u32 v19, v11, v18
	v_mul_lo_u32 v20, v11, v18
	v_mul_lo_u32 v30, v10, v16
	v_mul_hi_u32 v18, v10, v18
	v_mul_hi_u32 v21, v10, v16
	v_add_co_u32_e32 v18, vcc, v18, v30
	v_addc_co_u32_e32 v21, vcc, 0, v21, vcc
	v_add_co_u32_e32 v18, vcc, v18, v20
	v_mul_hi_u32 v17, v11, v16
	v_addc_co_u32_e32 v18, vcc, v21, v19, vcc
	v_addc_co_u32_e32 v17, vcc, 0, v17, vcc
	v_mul_lo_u32 v16, v11, v16
	v_add_co_u32_e32 v16, vcc, v18, v16
	v_addc_co_u32_e32 v17, vcc, 0, v17, vcc
	v_add_co_u32_e32 v16, vcc, v10, v16
	v_addc_co_u32_e32 v17, vcc, v11, v17, vcc
	v_mad_u64_u32 v[10:11], s[12:13], v15, v17, 0
	v_mul_hi_u32 v18, v15, v16
	v_add_co_u32_e32 v18, vcc, v18, v10
	v_addc_co_u32_e32 v19, vcc, 0, v11, vcc
	v_mad_u64_u32 v[10:11], s[12:13], v3, v17, 0
	v_mad_u64_u32 v[16:17], s[12:13], v3, v16, 0
	v_add_co_u32_e32 v16, vcc, v18, v16
	v_addc_co_u32_e32 v16, vcc, v19, v17, vcc
	v_addc_co_u32_e32 v11, vcc, 0, v11, vcc
	v_add_co_u32_e32 v18, vcc, v16, v10
	v_addc_co_u32_e32 v19, vcc, 0, v11, vcc
	v_mad_u64_u32 v[10:11], s[12:13], s33, v18, 0
	v_mov_b32_e32 v16, v11
	v_mad_u64_u32 v[16:17], s[12:13], s33, v19, v[16:17]
	v_sub_co_u32_e32 v10, vcc, v15, v10
	v_subb_co_u32_e32 v3, vcc, v3, v16, vcc
	v_subrev_co_u32_e32 v11, vcc, s33, v10
	v_subbrev_co_u32_e32 v15, vcc, 0, v3, vcc
	v_cmp_le_u32_e32 vcc, s33, v11
	v_cndmask_b32_e64 v11, 0, -1, vcc
	v_cmp_eq_u32_e32 vcc, 0, v15
	v_cndmask_b32_e32 v11, -1, v11, vcc
	v_add_co_u32_e32 v15, vcc, 2, v18
	v_addc_co_u32_e32 v16, vcc, 0, v19, vcc
	v_add_co_u32_e32 v17, vcc, 1, v18
	v_cmp_le_u32_e64 s[12:13], s33, v10
	v_addc_co_u32_e32 v20, vcc, 0, v19, vcc
	v_cndmask_b32_e64 v10, 0, -1, s[12:13]
	v_cmp_eq_u32_e64 s[12:13], 0, v3
	v_cmp_ne_u32_e32 vcc, 0, v11
	v_cndmask_b32_e64 v3, -1, v10, s[12:13]
	v_cndmask_b32_e32 v11, v20, v16, vcc
	v_cmp_ne_u32_e64 s[12:13], 0, v3
	v_cndmask_b32_e32 v3, v17, v15, vcc
	v_cndmask_b32_e64 v11, v19, v11, s[12:13]
	v_cndmask_b32_e64 v10, v18, v3, s[12:13]
                                        ; implicit-def: $vgpr15
.LBB1_30:                               ;   in Loop: Header=BB1_5 Depth=1
	s_andn2_saveexec_b64 s[12:13], s[50:51]
	s_cbranch_execz .LBB1_32
; %bb.31:                               ;   in Loop: Header=BB1_5 Depth=1
	v_cvt_f32_u32_e32 v3, s33
	s_sub_i32 s50, 0, s33
	v_rcp_iflag_f32_e32 v3, v3
	v_mul_f32_e32 v3, 0x4f7ffffe, v3
	v_cvt_u32_f32_e32 v3, v3
	v_mul_lo_u32 v10, s50, v3
	v_mul_hi_u32 v10, v3, v10
	v_add_u32_e32 v3, v3, v10
	v_mul_hi_u32 v3, v15, v3
	v_mul_lo_u32 v10, v3, s33
	v_sub_u32_e32 v10, v15, v10
	v_add_u32_e32 v11, 1, v3
	v_subrev_u32_e32 v15, s33, v10
	v_cmp_le_u32_e32 vcc, s33, v10
	v_cndmask_b32_e32 v10, v10, v15, vcc
	v_cndmask_b32_e32 v3, v3, v11, vcc
	v_add_u32_e32 v11, 1, v3
	v_cmp_le_u32_e32 vcc, s33, v10
	v_cndmask_b32_e32 v10, v3, v11, vcc
	v_mov_b32_e32 v11, v2
.LBB1_32:                               ;   in Loop: Header=BB1_5 Depth=1
	s_or_b64 exec, exec, s[12:13]
	v_cndmask_b32_e64 v3, 1, 2, s[10:11]
	v_add_co_u32_e32 v10, vcc, v3, v10
	v_addc_co_u32_e32 v11, vcc, 0, v11, vcc
	v_cmp_lt_u64_e32 vcc, 33, v[10:11]
	s_mov_b64 s[10:11], 0
	s_mul_hi_u32 s56, s26, s34
	s_mul_i32 s57, s27, s34
	s_mul_i32 s58, s26, s35
	;; [unrolled: 1-line block ×3, first 2 shown]
                                        ; implicit-def: $vgpr16_vgpr17
                                        ; implicit-def: $vgpr20_vgpr21
                                        ; implicit-def: $vgpr18_vgpr19
	s_and_saveexec_b64 s[50:51], vcc
	s_xor_b64 s[50:51], exec, s[50:51]
	s_cbranch_execnz .LBB1_35
; %bb.33:                               ;   in Loop: Header=BB1_5 Depth=1
	s_andn2_saveexec_b64 s[50:51], s[50:51]
	s_cbranch_execnz .LBB1_46
.LBB1_34:                               ;   in Loop: Header=BB1_5 Depth=1
	s_or_b64 exec, exec, s[50:51]
	s_and_b64 exec, exec, s[10:11]
	s_cbranch_execz .LBB1_2
	s_branch .LBB1_47
.LBB1_35:                               ;   in Loop: Header=BB1_5 Depth=1
	v_add_co_u32_e32 v3, vcc, v12, v8
	v_addc_co_u32_e32 v12, vcc, 0, v13, vcc
	v_sub_co_u32_e32 v14, vcc, v14, v3
	v_subb_co_u32_e32 v3, vcc, v9, v12, vcc
	v_cmp_ne_u64_e32 vcc, 0, v[2:3]
                                        ; implicit-def: $vgpr12_vgpr13
	s_and_saveexec_b64 s[10:11], vcc
	s_xor_b64 s[52:53], exec, s[10:11]
	s_cbranch_execz .LBB1_37
; %bb.36:                               ;   in Loop: Header=BB1_5 Depth=1
	v_cvt_f32_u32_e32 v9, s33
	s_sub_u32 s10, 0, s33
	s_subb_u32 s11, 0, 0
	v_mac_f32_e32 v9, 0, v27
	v_rcp_f32_e32 v9, v9
	v_mul_f32_e32 v9, 0x5f7ffffc, v9
	v_mul_f32_e32 v12, 0x2f800000, v9
	v_trunc_f32_e32 v12, v12
	v_mac_f32_e32 v9, 0xcf800000, v12
	v_cvt_u32_f32_e32 v12, v12
	v_cvt_u32_f32_e32 v9, v9
	v_mul_lo_u32 v13, s10, v12
	v_mul_hi_u32 v16, s10, v9
	v_mul_lo_u32 v15, s11, v9
	v_add_u32_e32 v13, v16, v13
	v_mul_lo_u32 v17, s10, v9
	v_add_u32_e32 v13, v13, v15
	v_mul_hi_u32 v16, v9, v17
	v_mul_lo_u32 v18, v9, v13
	v_mul_hi_u32 v15, v9, v13
	v_add_co_u32_e32 v16, vcc, v16, v18
	v_addc_co_u32_e32 v15, vcc, 0, v15, vcc
	v_mul_hi_u32 v19, v12, v17
	v_mul_lo_u32 v17, v12, v17
	v_add_co_u32_e32 v16, vcc, v16, v17
	v_mul_hi_u32 v18, v12, v13
	v_addc_co_u32_e32 v15, vcc, v15, v19, vcc
	v_addc_co_u32_e32 v16, vcc, 0, v18, vcc
	v_mul_lo_u32 v13, v12, v13
	v_add_co_u32_e32 v13, vcc, v15, v13
	v_addc_co_u32_e32 v15, vcc, 0, v16, vcc
	v_add_co_u32_e32 v9, vcc, v9, v13
	v_addc_co_u32_e32 v12, vcc, v12, v15, vcc
	v_mul_lo_u32 v13, s10, v12
	v_mul_hi_u32 v15, s10, v9
	v_add_u32_e32 v13, v15, v13
	v_mul_lo_u32 v15, s11, v9
	v_add_u32_e32 v13, v13, v15
	v_mul_lo_u32 v16, s10, v9
	v_mul_hi_u32 v17, v12, v16
	v_mul_lo_u32 v18, v12, v16
	v_mul_lo_u32 v20, v9, v13
	v_mul_hi_u32 v16, v9, v16
	v_mul_hi_u32 v19, v9, v13
	v_add_co_u32_e32 v16, vcc, v16, v20
	v_addc_co_u32_e32 v19, vcc, 0, v19, vcc
	v_add_co_u32_e32 v16, vcc, v16, v18
	v_mul_hi_u32 v15, v12, v13
	v_addc_co_u32_e32 v16, vcc, v19, v17, vcc
	v_addc_co_u32_e32 v15, vcc, 0, v15, vcc
	v_mul_lo_u32 v13, v12, v13
	v_add_co_u32_e32 v13, vcc, v16, v13
	v_addc_co_u32_e32 v15, vcc, 0, v15, vcc
	v_add_co_u32_e32 v9, vcc, v9, v13
	v_addc_co_u32_e32 v15, vcc, v12, v15, vcc
	v_mad_u64_u32 v[12:13], s[10:11], v14, v15, 0
	v_mul_hi_u32 v16, v14, v9
	v_add_co_u32_e32 v18, vcc, v16, v12
	v_addc_co_u32_e32 v19, vcc, 0, v13, vcc
	v_mad_u64_u32 v[16:17], s[10:11], v3, v9, 0
	v_add_co_u32_e32 v9, vcc, v18, v16
	v_mad_u64_u32 v[12:13], s[10:11], v3, v15, 0
	v_addc_co_u32_e32 v9, vcc, v19, v17, vcc
	v_addc_co_u32_e32 v13, vcc, 0, v13, vcc
	v_add_co_u32_e32 v9, vcc, v9, v12
	v_addc_co_u32_e32 v15, vcc, 0, v13, vcc
	v_mad_u64_u32 v[12:13], s[10:11], s33, v9, 0
	v_mov_b32_e32 v16, v13
	v_mad_u64_u32 v[16:17], s[10:11], s33, v15, v[16:17]
	v_sub_co_u32_e32 v12, vcc, v14, v12
	v_subb_co_u32_e32 v3, vcc, v3, v16, vcc
	v_subrev_co_u32_e32 v13, vcc, s33, v12
	v_subbrev_co_u32_e32 v14, vcc, 0, v3, vcc
	v_cmp_le_u32_e32 vcc, s33, v13
	v_cndmask_b32_e64 v13, 0, -1, vcc
	v_cmp_eq_u32_e32 vcc, 0, v14
	v_cndmask_b32_e32 v13, -1, v13, vcc
	v_add_co_u32_e32 v14, vcc, 2, v9
	v_addc_co_u32_e32 v16, vcc, 0, v15, vcc
	v_add_co_u32_e32 v17, vcc, 1, v9
	v_cmp_le_u32_e64 s[10:11], s33, v12
	v_addc_co_u32_e32 v18, vcc, 0, v15, vcc
	v_cndmask_b32_e64 v12, 0, -1, s[10:11]
	v_cmp_eq_u32_e64 s[10:11], 0, v3
	v_cmp_ne_u32_e32 vcc, 0, v13
	v_cndmask_b32_e64 v3, -1, v12, s[10:11]
	v_cndmask_b32_e32 v13, v18, v16, vcc
	v_cmp_ne_u32_e64 s[10:11], 0, v3
	v_cndmask_b32_e32 v3, v17, v14, vcc
	v_cndmask_b32_e64 v13, v15, v13, s[10:11]
	v_cndmask_b32_e64 v12, v9, v3, s[10:11]
                                        ; implicit-def: $vgpr14
.LBB1_37:                               ;   in Loop: Header=BB1_5 Depth=1
	s_andn2_saveexec_b64 s[10:11], s[52:53]
	s_cbranch_execz .LBB1_39
; %bb.38:                               ;   in Loop: Header=BB1_5 Depth=1
	v_cvt_f32_u32_e32 v3, s33
	s_sub_i32 s13, 0, s33
	v_rcp_iflag_f32_e32 v3, v3
	v_mul_f32_e32 v3, 0x4f7ffffe, v3
	v_cvt_u32_f32_e32 v3, v3
	v_mul_lo_u32 v9, s13, v3
	v_mul_hi_u32 v9, v3, v9
	v_add_u32_e32 v3, v3, v9
	v_mul_hi_u32 v3, v14, v3
	v_mul_lo_u32 v9, v3, s33
	v_sub_u32_e32 v9, v14, v9
	v_add_u32_e32 v12, 1, v3
	v_subrev_u32_e32 v13, s33, v9
	v_cmp_le_u32_e32 vcc, s33, v9
	v_cndmask_b32_e32 v9, v9, v13, vcc
	v_cndmask_b32_e32 v3, v3, v12, vcc
	v_add_u32_e32 v12, 1, v3
	v_cmp_le_u32_e32 vcc, s33, v9
	v_cndmask_b32_e32 v12, v3, v12, vcc
	v_mov_b32_e32 v13, v2
.LBB1_39:                               ;   in Loop: Header=BB1_5 Depth=1
	s_or_b64 exec, exec, s[10:11]
	v_add_co_u32_e32 v12, vcc, v12, v8
	s_cmp_eq_u32 s33, 1
	v_addc_co_u32_e32 v13, vcc, 0, v13, vcc
	v_mov_b32_e32 v3, s34
	s_cselect_b64 s[52:53], -1, 0
	s_add_i32 s54, s58, s57
	v_mad_u64_u32 v[8:9], s[10:11], s26, v3, v[6:7]
	v_lshlrev_b64 v[14:15], 2, v[12:13]
	v_add_u32_e32 v9, s54, v9
	v_cmp_gt_u64_e32 vcc, 2.0, v[12:13]
	v_add_co_u32_e64 v12, s[10:11], v8, v14
	v_addc_co_u32_e64 v13, s[10:11], v9, v15, s[10:11]
	v_cmp_ge_u64_e64 s[10:11], v[12:13], v[8:9]
	s_add_i32 s13, s54, s56
	s_and_b64 s[10:11], s[10:11], vcc
	s_and_b64 s[54:55], s[52:53], s[10:11]
	s_mov_b64 s[10:11], -1
	v_pk_mov_b32 v[20:21], s[12:13], s[12:13] op_sel:[0,1]
	v_pk_mov_b32 v[16:17], v[0:1], v[0:1] op_sel:[0,1]
	;; [unrolled: 1-line block ×3, first 2 shown]
	s_and_saveexec_b64 s[52:53], s[54:55]
	s_cbranch_execz .LBB1_45
; %bb.40:                               ;   in Loop: Header=BB1_5 Depth=1
	v_and_b32_e32 v12, -2, v10
	v_mov_b32_e32 v13, v11
	s_lshl_b32 s59, s33, 3
	s_mov_b32 s60, s7
	s_mov_b64 s[54:55], 0
	v_pk_mov_b32 v[14:15], v[12:13], v[12:13] op_sel:[0,1]
.LBB1_41:                               ;   Parent Loop BB1_5 Depth=1
                                        ; =>  This Inner Loop Header: Depth=2
	global_load_dwordx2 v[16:17], v[8:9], off
	v_add_co_u32_e32 v14, vcc, -2, v14
	v_addc_co_u32_e32 v15, vcc, -1, v15, vcc
	v_cmp_eq_u64_e32 vcc, 0, v[14:15]
	s_or_b64 s[54:55], vcc, s[54:55]
	v_mov_b32_e32 v3, s60
	s_waitcnt vmcnt(0)
	v_div_scale_f32 v18, s[10:11], v29, v29, v17
	v_div_scale_f32 v20, s[10:11], v29, v29, v16
	v_rcp_f32_e32 v21, v18
	v_rcp_f32_e32 v30, v20
	v_div_scale_f32 v19, vcc, v17, v29, v17
	v_fma_f32 v32, -v18, v21, 1.0
	v_fma_f32 v33, -v20, v30, 1.0
	v_fmac_f32_e32 v21, v32, v21
	v_div_scale_f32 v31, s[10:11], v16, v29, v16
	v_fmac_f32_e32 v30, v33, v30
	v_mul_f32_e32 v32, v19, v21
	v_mul_f32_e32 v33, v31, v30
	v_fma_f32 v34, -v18, v32, v19
	v_fma_f32 v35, -v20, v33, v31
	v_fmac_f32_e32 v32, v34, v21
	v_fmac_f32_e32 v33, v35, v30
	v_fma_f32 v18, -v18, v32, v19
	v_fma_f32 v19, -v20, v33, v31
	v_div_fmas_f32 v18, v18, v21, v32
	s_mov_b64 vcc, s[10:11]
	v_div_fixup_f32 v17, v18, v29, v17
	v_div_fmas_f32 v18, v19, v30, v33
	v_div_fixup_f32 v16, v18, v29, v16
	global_store_dwordx2 v[8:9], v[16:17], off
	v_add_co_u32_e32 v8, vcc, s59, v8
	v_addc_co_u32_e32 v9, vcc, v9, v3, vcc
	s_andn2_b64 exec, exec, s[54:55]
	s_cbranch_execnz .LBB1_41
; %bb.42:                               ;   in Loop: Header=BB1_5 Depth=1
	s_or_b64 exec, exec, s[54:55]
	v_cmp_ne_u64_e32 vcc, v[10:11], v[12:13]
	s_mov_b64 s[10:11], 0
                                        ; implicit-def: $vgpr16_vgpr17
                                        ; implicit-def: $vgpr18_vgpr19
	s_and_saveexec_b64 s[54:55], vcc
	s_xor_b64 s[54:55], exec, s[54:55]
; %bb.43:                               ;   in Loop: Header=BB1_5 Depth=1
	v_mad_u64_u32 v[16:17], s[60:61], v12, s33, v[0:1]
	v_mov_b32_e32 v8, v17
	v_mad_u64_u32 v[8:9], s[60:61], v13, s33, v[8:9]
	v_mov_b32_e32 v17, v8
	s_mov_b64 s[10:11], exec
	v_lshlrev_b64 v[18:19], 2, v[16:17]
                                        ; kill: def $vgpr3 killed $sgpr0 killed $exec
; %bb.44:                               ;   in Loop: Header=BB1_5 Depth=1
	s_or_b64 exec, exec, s[54:55]
	v_pk_mov_b32 v[20:21], s[12:13], s[12:13] op_sel:[0,1]
	s_orn2_b64 s[10:11], s[10:11], exec
.LBB1_45:                               ;   in Loop: Header=BB1_5 Depth=1
	s_or_b64 exec, exec, s[52:53]
	s_and_b64 s[10:11], s[10:11], exec
	s_andn2_saveexec_b64 s[50:51], s[50:51]
	s_cbranch_execz .LBB1_34
.LBB1_46:                               ;   in Loop: Header=BB1_5 Depth=1
	s_add_i32 s13, s56, s58
	s_add_i32 s13, s13, s57
	v_pk_mov_b32 v[20:21], s[12:13], s[12:13] op_sel:[0,1]
	s_or_b64 s[10:11], s[10:11], exec
	v_pk_mov_b32 v[16:17], v[0:1], v[0:1] op_sel:[0,1]
	v_pk_mov_b32 v[18:19], v[4:5], v[4:5] op_sel:[0,1]
	s_or_b64 exec, exec, s[50:51]
	s_and_b64 exec, exec, s[10:11]
	s_cbranch_execz .LBB1_2
.LBB1_47:                               ;   in Loop: Header=BB1_5 Depth=1
	v_add_co_u32_e32 v3, vcc, v20, v18
	v_addc_co_u32_e32 v9, vcc, v21, v19, vcc
	v_mov_b32_e32 v10, s17
	v_add_co_u32_e32 v8, vcc, s16, v3
	v_addc_co_u32_e32 v9, vcc, v10, v9, vcc
	s_lshl_b32 s12, s33, 2
	s_mov_b32 s13, s7
	s_mov_b64 s[10:11], 0
.LBB1_48:                               ;   Parent Loop BB1_5 Depth=1
                                        ; =>  This Inner Loop Header: Depth=2
	global_load_dword v3, v[8:9], off
	v_mov_b32_e32 v10, s7
	v_add_co_u32_e32 v16, vcc, s33, v16
	v_addc_co_u32_e32 v17, vcc, v17, v10, vcc
	v_cmp_le_i64_e32 vcc, s[14:15], v[16:17]
	s_or_b64 s[10:11], vcc, s[10:11]
	v_mov_b32_e32 v11, s13
	s_waitcnt vmcnt(0)
	v_div_scale_f32 v10, s[50:51], v29, v29, v3
	v_rcp_f32_e32 v12, v10
	v_div_scale_f32 v13, vcc, v3, v29, v3
	v_fma_f32 v14, -v10, v12, 1.0
	v_fmac_f32_e32 v12, v14, v12
	v_mul_f32_e32 v14, v13, v12
	v_fma_f32 v15, -v10, v14, v13
	v_fmac_f32_e32 v14, v15, v12
	v_fma_f32 v10, -v10, v14, v13
	v_div_fmas_f32 v10, v10, v12, v14
	v_div_fixup_f32 v3, v10, v29, v3
	global_store_dword v[8:9], v3, off
	v_add_co_u32_e32 v8, vcc, s12, v8
	v_addc_co_u32_e32 v9, vcc, v9, v11, vcc
	s_andn2_b64 exec, exec, s[10:11]
	s_cbranch_execnz .LBB1_48
	s_branch .LBB1_2
.LBB1_49:
	s_or_b64 exec, exec, s[24:25]
	s_xor_b64 s[2:3], s[30:31], -1
	s_mov_b64 s[0:1], 0
	s_and_saveexec_b64 s[4:5], s[2:3]
	s_xor_b64 s[2:3], exec, s[4:5]
	s_cbranch_execnz .LBB1_54
; %bb.50:
	s_andn2_saveexec_b64 s[2:3], s[2:3]
	s_cbranch_execnz .LBB1_56
.LBB1_51:
	s_or_b64 exec, exec, s[2:3]
	s_and_saveexec_b64 s[2:3], s[0:1]
.LBB1_52:
	; divergent unreachable
.LBB1_53:
	s_endpgm
.LBB1_54:
	s_and_saveexec_b64 s[4:5], s[22:23]
	s_xor_b64 s[4:5], exec, s[4:5]
	s_cbranch_execnz .LBB1_57
.LBB1_55:
	s_or_b64 exec, exec, s[4:5]
	s_and_b64 s[0:1], s[0:1], exec
	s_andn2_saveexec_b64 s[2:3], s[2:3]
	s_cbranch_execz .LBB1_51
.LBB1_56:
	s_or_b64 s[0:1], s[0:1], exec
	s_trap 2
	s_or_b64 exec, exec, s[2:3]
	s_and_saveexec_b64 s[2:3], s[0:1]
	s_cbranch_execnz .LBB1_52
	s_branch .LBB1_53
.LBB1_57:
	s_mov_b64 s[0:1], exec
	s_trap 2
	s_branch .LBB1_55
	.section	.rodata,"a",@progbits
	.p2align	6, 0x0
	.amdhsa_kernel _ZN2at6native12_GLOBAL__N_112renormRowsL1IfEEvPT_ll
		.amdhsa_group_segment_fixed_size 0
		.amdhsa_private_segment_fixed_size 0
		.amdhsa_kernarg_size 280
		.amdhsa_user_sgpr_count 6
		.amdhsa_user_sgpr_private_segment_buffer 1
		.amdhsa_user_sgpr_dispatch_ptr 0
		.amdhsa_user_sgpr_queue_ptr 0
		.amdhsa_user_sgpr_kernarg_segment_ptr 1
		.amdhsa_user_sgpr_dispatch_id 0
		.amdhsa_user_sgpr_flat_scratch_init 0
		.amdhsa_user_sgpr_kernarg_preload_length 0
		.amdhsa_user_sgpr_kernarg_preload_offset 0
		.amdhsa_user_sgpr_private_segment_size 0
		.amdhsa_uses_dynamic_stack 0
		.amdhsa_system_sgpr_private_segment_wavefront_offset 0
		.amdhsa_system_sgpr_workgroup_id_x 1
		.amdhsa_system_sgpr_workgroup_id_y 0
		.amdhsa_system_sgpr_workgroup_id_z 0
		.amdhsa_system_sgpr_workgroup_info 0
		.amdhsa_system_vgpr_workitem_id 0
		.amdhsa_next_free_vgpr 36
		.amdhsa_next_free_sgpr 62
		.amdhsa_accum_offset 36
		.amdhsa_reserve_vcc 1
		.amdhsa_reserve_flat_scratch 0
		.amdhsa_float_round_mode_32 0
		.amdhsa_float_round_mode_16_64 0
		.amdhsa_float_denorm_mode_32 3
		.amdhsa_float_denorm_mode_16_64 3
		.amdhsa_dx10_clamp 1
		.amdhsa_ieee_mode 1
		.amdhsa_fp16_overflow 0
		.amdhsa_tg_split 0
		.amdhsa_exception_fp_ieee_invalid_op 0
		.amdhsa_exception_fp_denorm_src 0
		.amdhsa_exception_fp_ieee_div_zero 0
		.amdhsa_exception_fp_ieee_overflow 0
		.amdhsa_exception_fp_ieee_underflow 0
		.amdhsa_exception_fp_ieee_inexact 0
		.amdhsa_exception_int_div_zero 0
	.end_amdhsa_kernel
	.section	.text._ZN2at6native12_GLOBAL__N_112renormRowsL1IfEEvPT_ll,"axG",@progbits,_ZN2at6native12_GLOBAL__N_112renormRowsL1IfEEvPT_ll,comdat
.Lfunc_end1:
	.size	_ZN2at6native12_GLOBAL__N_112renormRowsL1IfEEvPT_ll, .Lfunc_end1-_ZN2at6native12_GLOBAL__N_112renormRowsL1IfEEvPT_ll
                                        ; -- End function
	.section	.AMDGPU.csdata,"",@progbits
; Kernel info:
; codeLenInByte = 3496
; NumSgprs: 66
; NumVgprs: 36
; NumAgprs: 0
; TotalNumVgprs: 36
; ScratchSize: 0
; MemoryBound: 0
; FloatMode: 240
; IeeeMode: 1
; LDSByteSize: 0 bytes/workgroup (compile time only)
; SGPRBlocks: 8
; VGPRBlocks: 4
; NumSGPRsForWavesPerEU: 66
; NumVGPRsForWavesPerEU: 36
; AccumOffset: 36
; Occupancy: 8
; WaveLimiterHint : 0
; COMPUTE_PGM_RSRC2:SCRATCH_EN: 0
; COMPUTE_PGM_RSRC2:USER_SGPR: 6
; COMPUTE_PGM_RSRC2:TRAP_HANDLER: 0
; COMPUTE_PGM_RSRC2:TGID_X_EN: 1
; COMPUTE_PGM_RSRC2:TGID_Y_EN: 0
; COMPUTE_PGM_RSRC2:TGID_Z_EN: 0
; COMPUTE_PGM_RSRC2:TIDIG_COMP_CNT: 0
; COMPUTE_PGM_RSRC3_GFX90A:ACCUM_OFFSET: 8
; COMPUTE_PGM_RSRC3_GFX90A:TG_SPLIT: 0
	.section	.text._ZN2at6native12_GLOBAL__N_112renormRowsL1IN3c104HalfEEEvPT_ll,"axG",@progbits,_ZN2at6native12_GLOBAL__N_112renormRowsL1IN3c104HalfEEEvPT_ll,comdat
	.globl	_ZN2at6native12_GLOBAL__N_112renormRowsL1IN3c104HalfEEEvPT_ll ; -- Begin function _ZN2at6native12_GLOBAL__N_112renormRowsL1IN3c104HalfEEEvPT_ll
	.p2align	8
	.type	_ZN2at6native12_GLOBAL__N_112renormRowsL1IN3c104HalfEEEvPT_ll,@function
_ZN2at6native12_GLOBAL__N_112renormRowsL1IN3c104HalfEEEvPT_ll: ; @_ZN2at6native12_GLOBAL__N_112renormRowsL1IN3c104HalfEEEvPT_ll
; %bb.0:
	s_load_dwordx4 s[16:19], s[4:5], 0x0
	s_mov_b32 s7, 0
	s_waitcnt lgkmcnt(0)
	v_pk_mov_b32 v[2:3], s[18:19], s[18:19] op_sel:[0,1]
	v_cmp_ge_i64_e32 vcc, s[6:7], v[2:3]
	s_cbranch_vccnz .LBB2_45
; %bb.1:
	s_load_dwordx2 s[14:15], s[4:5], 0x10
	v_mov_b32_e32 v2, 0
	v_and_b32_e32 v3, 63, v0
	v_mov_b32_e32 v1, v2
	v_cmp_eq_u32_e64 s[2:3], 0, v3
	v_lshl_add_u32 v12, v3, 1, 0
	v_mbcnt_lo_u32_b32 v3, -1, 0
	s_add_u32 s20, s4, 24
	v_lshrrev_b32_e32 v4, 5, v0
	s_waitcnt lgkmcnt(0)
	v_cmp_le_i64_e32 vcc, s[14:15], v[0:1]
	v_mbcnt_hi_u32_b32 v15, -1, v3
	s_addc_u32 s21, s5, 0
	v_cmp_gt_i64_e64 s[0:1], s[14:15], v[0:1]
	v_cmp_gt_u32_e64 s[4:5], 64, v0
	v_cmp_eq_u32_e64 s[8:9], 0, v0
	s_lshl_b64 s[26:27], s[14:15], 1
	s_mov_b64 s[24:25], 0
	v_add_u32_e32 v13, 0, v4
	s_xor_b64 s[28:29], vcc, -1
	v_lshlrev_b32_e32 v14, 1, v0
	v_and_b32_e32 v16, 63, v15
	v_mov_b32_e32 v17, 0x4f800000
	s_mov_b64 s[34:35], s[6:7]
                                        ; implicit-def: $sgpr30_sgpr31
                                        ; implicit-def: $sgpr22_sgpr23
                                        ; implicit-def: $sgpr36_sgpr37
                                        ; implicit-def: $sgpr38_sgpr39
                                        ; implicit-def: $vgpr18
	s_branch .LBB2_5
.LBB2_2:                                ;   in Loop: Header=BB2_5 Depth=1
	s_or_b64 exec, exec, s[48:49]
	s_add_u32 s34, s34, s6
	s_addc_u32 s35, s35, 0
	v_pk_mov_b32 v[4:5], s[18:19], s[18:19] op_sel:[0,1]
	v_cmp_ge_i64_e32 vcc, s[34:35], v[4:5]
	s_andn2_b64 s[44:45], s[44:45], exec
	s_andn2_b64 s[42:43], s[42:43], exec
	s_orn2_b64 s[10:11], vcc, exec
.LBB2_3:                                ;   in Loop: Header=BB2_5 Depth=1
	s_or_b64 exec, exec, s[46:47]
	s_andn2_b64 s[12:13], s[38:39], exec
	s_and_b64 s[38:39], s[44:45], exec
	s_or_b64 s[38:39], s[12:13], s[38:39]
	s_andn2_b64 s[12:13], s[36:37], exec
	s_and_b64 s[36:37], s[42:43], exec
	s_or_b64 s[36:37], s[12:13], s[36:37]
	s_orn2_b64 s[10:11], s[10:11], exec
.LBB2_4:                                ;   in Loop: Header=BB2_5 Depth=1
	s_or_b64 exec, exec, s[40:41]
	s_and_b64 s[10:11], exec, s[10:11]
	s_or_b64 s[24:25], s[10:11], s[24:25]
	s_andn2_b64 s[10:11], s[22:23], exec
	s_and_b64 s[12:13], s[38:39], exec
	s_or_b64 s[22:23], s[10:11], s[12:13]
	s_andn2_b64 s[10:11], s[30:31], exec
	s_and_b64 s[12:13], s[36:37], exec
	s_or_b64 s[30:31], s[10:11], s[12:13]
	s_andn2_b64 exec, exec, s[24:25]
	s_cbranch_execz .LBB2_41
.LBB2_5:                                ; =>This Loop Header: Depth=1
                                        ;     Child Loop BB2_10 Depth 2
                                        ;     Child Loop BB2_36 Depth 2
	;; [unrolled: 1-line block ×3, first 2 shown]
	s_mov_b64 s[12:13], -1
	v_mov_b32_e32 v4, 0
                                        ; implicit-def: $sgpr42_sgpr43
                                        ; implicit-def: $sgpr46_sgpr47
	s_and_saveexec_b64 s[10:11], s[0:1]
	s_cbranch_execz .LBB2_17
; %bb.6:                                ;   in Loop: Header=BB2_5 Depth=1
	s_mul_i32 s6, s34, s15
	s_mul_hi_u32 s12, s34, s14
	s_add_i32 s6, s12, s6
	s_mul_i32 s12, s35, s14
	s_add_i32 s13, s6, s12
	s_mul_i32 s12, s34, s14
	s_lshl_b64 s[12:13], s[12:13], 1
	s_add_u32 s12, s16, s12
	s_addc_u32 s13, s17, s13
	global_load_ushort v18, v14, s[12:13]
	s_mov_b64 s[44:45], -1
	s_mov_b64 s[40:41], 0
	v_mov_b32_e32 v4, 0
	s_mov_b64 s[46:47], 0
	s_waitcnt vmcnt(0)
	v_cmp_ngt_f16_e32 vcc, 0, v18
	s_and_saveexec_b64 s[12:13], vcc
	s_cbranch_execz .LBB2_16
; %bb.7:                                ;   in Loop: Header=BB2_5 Depth=1
	s_load_dword s6, s[20:21], 0xc
	v_add_f16_e32 v3, 0, v18
	s_mov_b64 s[42:43], 0
	s_mov_b64 s[48:49], -1
	s_waitcnt lgkmcnt(0)
	s_and_b32 s6, s6, 0xffff
	v_add_co_u32_e32 v4, vcc, s6, v0
	v_addc_co_u32_e64 v5, s[40:41], 0, 0, vcc
	v_cmp_gt_i64_e32 vcc, s[14:15], v[4:5]
	s_mov_b64 s[40:41], -1
	s_and_saveexec_b64 s[44:45], vcc
	s_cbranch_execz .LBB2_13
; %bb.8:                                ;   in Loop: Header=BB2_5 Depth=1
	s_mul_i32 s33, s26, s35
	s_mul_hi_u32 s46, s26, s34
	s_add_i32 s33, s46, s33
	s_mul_i32 s46, s27, s34
	s_add_i32 s33, s33, s46
	s_mul_i32 s46, s26, s34
	s_add_u32 s46, s16, s46
	v_lshlrev_b32_e32 v6, 1, v4
	s_addc_u32 s33, s17, s33
	v_mov_b32_e32 v7, s33
	v_add_co_u32_e32 v6, vcc, s46, v6
	v_addc_co_u32_e32 v7, vcc, 0, v7, vcc
	s_lshl_b32 s33, s6, 1
	s_mov_b32 s56, s7
	s_mov_b64 s[46:47], 0
                                        ; implicit-def: $sgpr48_sgpr49
                                        ; implicit-def: $sgpr52_sgpr53
                                        ; implicit-def: $sgpr50_sgpr51
	s_branch .LBB2_10
.LBB2_9:                                ;   in Loop: Header=BB2_10 Depth=2
	s_or_b64 exec, exec, s[54:55]
	s_xor_b64 s[54:55], s[50:51], -1
	s_and_b64 s[58:59], exec, s[52:53]
	s_or_b64 s[46:47], s[58:59], s[46:47]
	s_andn2_b64 s[48:49], s[48:49], exec
	s_and_b64 s[54:55], s[54:55], exec
	s_or_b64 s[48:49], s[48:49], s[54:55]
	s_andn2_b64 exec, exec, s[46:47]
	s_cbranch_execz .LBB2_12
.LBB2_10:                               ;   Parent Loop BB2_5 Depth=1
                                        ; =>  This Inner Loop Header: Depth=2
	global_load_ushort v18, v[6:7], off
	s_or_b64 s[50:51], s[50:51], exec
	s_or_b64 s[52:53], s[52:53], exec
	s_waitcnt vmcnt(0)
	v_cmp_ngt_f16_e32 vcc, 0, v18
	s_and_saveexec_b64 s[54:55], vcc
	s_cbranch_execz .LBB2_9
; %bb.11:                               ;   in Loop: Header=BB2_10 Depth=2
	v_mov_b32_e32 v8, s7
	v_add_co_u32_e32 v4, vcc, s6, v4
	v_addc_co_u32_e32 v5, vcc, v5, v8, vcc
	v_mov_b32_e32 v8, s56
	v_add_co_u32_e32 v6, vcc, s33, v6
	v_addc_co_u32_e32 v7, vcc, v7, v8, vcc
	v_cmp_le_i64_e32 vcc, s[14:15], v[4:5]
	s_andn2_b64 s[52:53], s[52:53], exec
	s_and_b64 s[58:59], vcc, exec
	v_add_f16_e32 v3, v3, v18
	s_andn2_b64 s[50:51], s[50:51], exec
	s_or_b64 s[52:53], s[52:53], s[58:59]
	s_branch .LBB2_9
.LBB2_12:                               ;   in Loop: Header=BB2_5 Depth=1
	s_or_b64 exec, exec, s[46:47]
	s_mov_b64 s[46:47], 0
	s_orn2_b64 s[48:49], s[48:49], exec
.LBB2_13:                               ;   in Loop: Header=BB2_5 Depth=1
	s_or_b64 exec, exec, s[44:45]
	v_mov_b32_e32 v4, 0
	s_and_saveexec_b64 s[44:45], s[48:49]
	s_xor_b64 s[44:45], exec, s[44:45]
; %bb.14:                               ;   in Loop: Header=BB2_5 Depth=1
	s_mov_b64 s[42:43], exec
	v_mov_b32_e32 v4, v3
; %bb.15:                               ;   in Loop: Header=BB2_5 Depth=1
	s_or_b64 exec, exec, s[44:45]
	s_and_b64 s[46:47], s[46:47], exec
	s_orn2_b64 s[44:45], s[40:41], exec
	s_and_b64 s[40:41], s[42:43], exec
.LBB2_16:                               ;   in Loop: Header=BB2_5 Depth=1
	s_or_b64 exec, exec, s[12:13]
	s_and_b64 s[46:47], s[46:47], exec
	s_and_b64 s[42:43], s[44:45], exec
	s_orn2_b64 s[12:13], s[40:41], exec
.LBB2_17:                               ;   in Loop: Header=BB2_5 Depth=1
	s_or_b64 exec, exec, s[10:11]
	s_andn2_b64 s[38:39], s[38:39], exec
	s_and_b64 s[40:41], s[46:47], exec
	s_or_b64 s[38:39], s[38:39], s[40:41]
	s_andn2_b64 s[36:37], s[36:37], exec
	s_and_b64 s[40:41], s[42:43], exec
	s_mov_b64 s[10:11], -1
	s_or_b64 s[36:37], s[36:37], s[40:41]
	s_and_saveexec_b64 s[40:41], s[12:13]
	s_cbranch_execz .LBB2_4
; %bb.18:                               ;   in Loop: Header=BB2_5 Depth=1
	v_cmp_gt_u32_e32 vcc, 32, v16
	v_cndmask_b32_e64 v3, 0, 1, vcc
	v_lshlrev_b32_e32 v3, 5, v3
	v_and_b32_e32 v5, 0xffff, v4
	v_add_lshl_u32 v3, v3, v15, 2
	ds_bpermute_b32 v5, v3, v5
	v_cmp_gt_u32_e32 vcc, 48, v16
	v_cndmask_b32_e64 v6, 0, 1, vcc
	v_cmp_gt_u32_e32 vcc, 56, v16
	v_cndmask_b32_e64 v7, 0, 1, vcc
	s_waitcnt lgkmcnt(0)
	v_add_f16_e32 v5, v4, v5
	v_lshlrev_b32_e32 v4, 4, v6
	v_add_lshl_u32 v4, v4, v15, 2
	ds_bpermute_b32 v6, v4, v5
	v_cmp_gt_u32_e32 vcc, 60, v16
	v_cndmask_b32_e64 v8, 0, 1, vcc
	v_cmp_gt_u32_e32 vcc, 62, v16
	v_cndmask_b32_e64 v9, 0, 1, vcc
	s_waitcnt lgkmcnt(0)
	v_add_f16_e32 v6, v5, v6
	v_lshlrev_b32_e32 v5, 3, v7
	v_add_lshl_u32 v5, v5, v15, 2
	ds_bpermute_b32 v7, v5, v6
	v_cmp_ne_u32_e32 vcc, 63, v16
	s_waitcnt lgkmcnt(0)
	s_barrier
	v_add_f16_e32 v7, v6, v7
	v_lshlrev_b32_e32 v6, 2, v8
	v_add_lshl_u32 v6, v6, v15, 2
	ds_bpermute_b32 v8, v6, v7
	s_waitcnt lgkmcnt(0)
	v_add_f16_e32 v8, v7, v8
	v_lshlrev_b32_e32 v7, 1, v9
	v_add_lshl_u32 v7, v7, v15, 2
	ds_bpermute_b32 v9, v7, v8
	s_waitcnt lgkmcnt(0)
	v_add_f16_e32 v9, v8, v9
	v_addc_co_u32_e32 v8, vcc, 0, v15, vcc
	v_lshlrev_b32_e32 v8, 2, v8
	ds_bpermute_b32 v10, v8, v9
	s_and_saveexec_b64 s[10:11], s[2:3]
	s_cbranch_execz .LBB2_20
; %bb.19:                               ;   in Loop: Header=BB2_5 Depth=1
	s_waitcnt lgkmcnt(0)
	v_add_f16_e32 v9, v9, v10
	ds_write_b16 v13, v9
.LBB2_20:                               ;   in Loop: Header=BB2_5 Depth=1
	s_or_b64 exec, exec, s[10:11]
	s_waitcnt lgkmcnt(0)
	s_barrier
	s_load_dword s33, s[20:21], 0xc
	s_load_dword s6, s[20:21], 0x0
	v_mov_b32_e32 v9, 0
	s_waitcnt lgkmcnt(0)
	s_bfe_u32 s10, s33, 0xa0006
	v_cmp_gt_u32_e32 vcc, s10, v0
	s_and_saveexec_b64 s[10:11], vcc
	s_cbranch_execz .LBB2_22
; %bb.21:                               ;   in Loop: Header=BB2_5 Depth=1
	ds_read_u16 v9, v12
.LBB2_22:                               ;   in Loop: Header=BB2_5 Depth=1
	s_or_b64 exec, exec, s[10:11]
	s_and_saveexec_b64 s[10:11], s[4:5]
	s_cbranch_execz .LBB2_24
; %bb.23:                               ;   in Loop: Header=BB2_5 Depth=1
	s_waitcnt lgkmcnt(0)
	v_and_b32_e32 v10, 0xffff, v9
	ds_bpermute_b32 v3, v3, v10
	s_waitcnt lgkmcnt(0)
	v_add_f16_e32 v3, v9, v3
	ds_bpermute_b32 v4, v4, v3
	s_waitcnt lgkmcnt(0)
	v_add_f16_e32 v3, v3, v4
	;; [unrolled: 3-line block ×6, first 2 shown]
.LBB2_24:                               ;   in Loop: Header=BB2_5 Depth=1
	s_or_b64 exec, exec, s[10:11]
	s_mov_b64 s[10:11], -1
	s_mov_b64 s[48:49], -1
                                        ; implicit-def: $sgpr44_sgpr45
                                        ; implicit-def: $sgpr42_sgpr43
	s_and_saveexec_b64 s[12:13], s[8:9]
	s_cbranch_execz .LBB2_28
; %bb.25:                               ;   in Loop: Header=BB2_5 Depth=1
	v_cmp_ngt_f16_e32 vcc, 0, v18
	s_mov_b64 s[42:43], 0
	s_mov_b64 s[46:47], 0
	s_and_saveexec_b64 s[44:45], vcc
	s_cbranch_execz .LBB2_27
; %bb.26:                               ;   in Loop: Header=BB2_5 Depth=1
	s_mov_b64 s[46:47], exec
	s_waitcnt lgkmcnt(0)
	ds_write_b16 v2, v9
.LBB2_27:                               ;   in Loop: Header=BB2_5 Depth=1
	s_or_b64 exec, exec, s[44:45]
	s_mov_b64 s[44:45], -1
	s_orn2_b64 s[48:49], s[46:47], exec
.LBB2_28:                               ;   in Loop: Header=BB2_5 Depth=1
	s_or_b64 exec, exec, s[12:13]
	s_and_saveexec_b64 s[46:47], s[48:49]
	s_cbranch_execz .LBB2_3
; %bb.29:                               ;   in Loop: Header=BB2_5 Depth=1
	s_waitcnt lgkmcnt(0)
	s_barrier
	ds_read_u16 v19, v2
	s_waitcnt lgkmcnt(0)
	v_cmp_lt_f16_e32 vcc, 0, v19
	s_and_b64 s[10:11], vcc, s[28:29]
	s_and_saveexec_b64 s[48:49], s[10:11]
	s_cbranch_execz .LBB2_2
; %bb.30:                               ;   in Loop: Header=BB2_5 Depth=1
	s_and_b32 s33, s33, 0xffff
	v_add_co_u32_e32 v4, vcc, s33, v0
	v_addc_co_u32_e64 v5, s[10:11], 0, 0, vcc
	v_cmp_gt_i64_e64 s[10:11], s[14:15], v[4:5]
	v_mov_b32_e32 v6, s14
	v_mov_b32_e32 v3, s15
	v_cndmask_b32_e64 v6, v4, v6, s[10:11]
	v_cndmask_b32_e64 v7, 0, 1, s[10:11]
	;; [unrolled: 1-line block ×3, first 2 shown]
	v_sub_co_u32_e32 v6, vcc, v6, v7
	v_subbrev_co_u32_e32 v3, vcc, 0, v3, vcc
	v_sub_co_u32_e32 v6, vcc, v6, v4
	v_subb_co_u32_e32 v3, vcc, v3, v5, vcc
	v_cmp_ne_u64_e32 vcc, 0, v[2:3]
                                        ; implicit-def: $vgpr4_vgpr5
	s_and_saveexec_b64 s[12:13], vcc
	s_xor_b64 s[50:51], exec, s[12:13]
	s_cbranch_execz .LBB2_32
; %bb.31:                               ;   in Loop: Header=BB2_5 Depth=1
	v_cvt_f32_u32_e32 v4, s33
	s_sub_u32 s12, 0, s33
	s_subb_u32 s13, 0, 0
	v_mac_f32_e32 v4, 0, v17
	v_rcp_f32_e32 v4, v4
	v_mul_f32_e32 v4, 0x5f7ffffc, v4
	v_mul_f32_e32 v5, 0x2f800000, v4
	v_trunc_f32_e32 v5, v5
	v_mac_f32_e32 v4, 0xcf800000, v5
	v_cvt_u32_f32_e32 v5, v5
	v_cvt_u32_f32_e32 v4, v4
	v_mul_lo_u32 v7, s12, v5
	v_mul_hi_u32 v9, s12, v4
	v_mul_lo_u32 v8, s13, v4
	v_add_u32_e32 v7, v9, v7
	v_mul_lo_u32 v10, s12, v4
	v_add_u32_e32 v7, v7, v8
	v_mul_hi_u32 v9, v4, v10
	v_mul_lo_u32 v11, v4, v7
	v_mul_hi_u32 v8, v4, v7
	v_add_co_u32_e32 v9, vcc, v9, v11
	v_addc_co_u32_e32 v8, vcc, 0, v8, vcc
	v_mul_hi_u32 v20, v5, v10
	v_mul_lo_u32 v10, v5, v10
	v_add_co_u32_e32 v9, vcc, v9, v10
	v_mul_hi_u32 v11, v5, v7
	v_addc_co_u32_e32 v8, vcc, v8, v20, vcc
	v_addc_co_u32_e32 v9, vcc, 0, v11, vcc
	v_mul_lo_u32 v7, v5, v7
	v_add_co_u32_e32 v7, vcc, v8, v7
	v_addc_co_u32_e32 v8, vcc, 0, v9, vcc
	v_add_co_u32_e32 v4, vcc, v4, v7
	v_addc_co_u32_e32 v5, vcc, v5, v8, vcc
	v_mul_lo_u32 v7, s12, v5
	v_mul_hi_u32 v8, s12, v4
	v_add_u32_e32 v7, v8, v7
	v_mul_lo_u32 v8, s13, v4
	v_add_u32_e32 v7, v7, v8
	v_mul_lo_u32 v9, s12, v4
	v_mul_hi_u32 v10, v5, v9
	v_mul_lo_u32 v11, v5, v9
	v_mul_lo_u32 v21, v4, v7
	v_mul_hi_u32 v9, v4, v9
	v_mul_hi_u32 v20, v4, v7
	v_add_co_u32_e32 v9, vcc, v9, v21
	v_addc_co_u32_e32 v20, vcc, 0, v20, vcc
	v_add_co_u32_e32 v9, vcc, v9, v11
	v_mul_hi_u32 v8, v5, v7
	v_addc_co_u32_e32 v9, vcc, v20, v10, vcc
	v_addc_co_u32_e32 v8, vcc, 0, v8, vcc
	v_mul_lo_u32 v7, v5, v7
	v_add_co_u32_e32 v7, vcc, v9, v7
	v_addc_co_u32_e32 v8, vcc, 0, v8, vcc
	v_add_co_u32_e32 v7, vcc, v4, v7
	v_addc_co_u32_e32 v8, vcc, v5, v8, vcc
	v_mad_u64_u32 v[4:5], s[12:13], v6, v8, 0
	v_mul_hi_u32 v9, v6, v7
	v_add_co_u32_e32 v10, vcc, v9, v4
	v_addc_co_u32_e32 v11, vcc, 0, v5, vcc
	v_mad_u64_u32 v[4:5], s[12:13], v3, v8, 0
	v_mad_u64_u32 v[8:9], s[12:13], v3, v7, 0
	v_add_co_u32_e32 v7, vcc, v10, v8
	v_addc_co_u32_e32 v7, vcc, v11, v9, vcc
	v_addc_co_u32_e32 v5, vcc, 0, v5, vcc
	v_add_co_u32_e32 v7, vcc, v7, v4
	v_addc_co_u32_e32 v10, vcc, 0, v5, vcc
	v_mad_u64_u32 v[4:5], s[12:13], s33, v7, 0
	v_mov_b32_e32 v8, v5
	v_mad_u64_u32 v[8:9], s[12:13], s33, v10, v[8:9]
	v_sub_co_u32_e32 v4, vcc, v6, v4
	v_subb_co_u32_e32 v3, vcc, v3, v8, vcc
	v_subrev_co_u32_e32 v5, vcc, s33, v4
	v_subbrev_co_u32_e32 v6, vcc, 0, v3, vcc
	v_cmp_le_u32_e32 vcc, s33, v5
	v_cndmask_b32_e64 v5, 0, -1, vcc
	v_cmp_eq_u32_e32 vcc, 0, v6
	v_cndmask_b32_e32 v5, -1, v5, vcc
	v_add_co_u32_e32 v6, vcc, 2, v7
	v_addc_co_u32_e32 v8, vcc, 0, v10, vcc
	v_add_co_u32_e32 v9, vcc, 1, v7
	v_cmp_le_u32_e64 s[12:13], s33, v4
	v_addc_co_u32_e32 v11, vcc, 0, v10, vcc
	v_cndmask_b32_e64 v4, 0, -1, s[12:13]
	v_cmp_eq_u32_e64 s[12:13], 0, v3
	v_cmp_ne_u32_e32 vcc, 0, v5
	v_cndmask_b32_e64 v3, -1, v4, s[12:13]
	v_cndmask_b32_e32 v5, v11, v8, vcc
	v_cmp_ne_u32_e64 s[12:13], 0, v3
	v_cndmask_b32_e32 v3, v9, v6, vcc
	v_cndmask_b32_e64 v5, v10, v5, s[12:13]
	v_cndmask_b32_e64 v4, v7, v3, s[12:13]
                                        ; implicit-def: $vgpr6
.LBB2_32:                               ;   in Loop: Header=BB2_5 Depth=1
	s_andn2_saveexec_b64 s[12:13], s[50:51]
	s_cbranch_execz .LBB2_34
; %bb.33:                               ;   in Loop: Header=BB2_5 Depth=1
	v_cvt_f32_u32_e32 v3, s33
	s_sub_i32 s50, 0, s33
	v_rcp_iflag_f32_e32 v3, v3
	v_mul_f32_e32 v3, 0x4f7ffffe, v3
	v_cvt_u32_f32_e32 v3, v3
	v_mul_lo_u32 v4, s50, v3
	v_mul_hi_u32 v4, v3, v4
	v_add_u32_e32 v3, v3, v4
	v_mul_hi_u32 v3, v6, v3
	v_mul_lo_u32 v4, v3, s33
	v_sub_u32_e32 v4, v6, v4
	v_add_u32_e32 v5, 1, v3
	v_subrev_u32_e32 v6, s33, v4
	v_cmp_le_u32_e32 vcc, s33, v4
	v_cndmask_b32_e32 v4, v4, v6, vcc
	v_cndmask_b32_e32 v3, v3, v5, vcc
	v_add_u32_e32 v5, 1, v3
	v_cmp_le_u32_e32 vcc, s33, v4
	v_cndmask_b32_e32 v4, v3, v5, vcc
	v_mov_b32_e32 v5, v2
.LBB2_34:                               ;   in Loop: Header=BB2_5 Depth=1
	s_or_b64 exec, exec, s[12:13]
	v_cndmask_b32_e64 v3, 1, 2, s[10:11]
	v_add_co_u32_e32 v4, vcc, v3, v4
	v_addc_co_u32_e32 v5, vcc, 0, v5, vcc
	s_cmp_eq_u32 s33, 1
	v_cmp_lt_u64_e32 vcc, 3, v[4:5]
	s_cselect_b64 s[10:11], -1, 0
	s_and_b64 s[50:51], vcc, s[10:11]
	s_mov_b64 s[12:13], -1
	v_pk_mov_b32 v[8:9], v[0:1], v[0:1] op_sel:[0,1]
	s_and_saveexec_b64 s[10:11], s[50:51]
	s_cbranch_execz .LBB2_38
; %bb.35:                               ;   in Loop: Header=BB2_5 Depth=1
	s_mul_i32 s12, s34, s15
	s_mul_hi_u32 s13, s34, s14
	s_add_i32 s12, s13, s12
	s_mul_i32 s13, s35, s14
	s_add_i32 s13, s12, s13
	s_mul_i32 s12, s34, s14
	s_lshl_b64 s[12:13], s[12:13], 1
	s_add_u32 s12, s16, s12
	s_addc_u32 s13, s17, s13
	v_and_b32_e32 v3, 0xffff, v19
	v_and_b32_e32 v6, -4, v4
	v_mov_b32_e32 v7, v5
	v_lshl_or_b32 v3, v19, 16, v3
	v_mov_b32_e32 v9, s13
	v_add_co_u32_e32 v8, vcc, s12, v14
	v_addc_co_u32_e32 v9, vcc, 0, v9, vcc
	s_lshl_b32 s50, s33, 3
	s_mov_b32 s51, s7
	s_mov_b64 s[12:13], 0
	v_lshrrev_b32_e32 v20, 16, v3
	v_pk_mov_b32 v[10:11], v[6:7], v[6:7] op_sel:[0,1]
.LBB2_36:                               ;   Parent Loop BB2_5 Depth=1
                                        ; =>  This Inner Loop Header: Depth=2
	global_load_dwordx2 v[22:23], v[8:9], off
	v_cvt_f32_f16_e32 v24, v3
	v_cvt_f32_f16_e32 v21, v20
	v_add_co_u32_e32 v10, vcc, -4, v10
	v_rcp_f32_e32 v27, v24
	v_rcp_f32_e32 v26, v21
	v_addc_co_u32_e32 v11, vcc, -1, v11, vcc
	v_cmp_eq_u64_e32 vcc, 0, v[10:11]
	v_mov_b32_e32 v25, s51
	s_or_b64 s[12:13], vcc, s[12:13]
	s_waitcnt vmcnt(0)
	v_lshrrev_b32_e32 v28, 16, v23
	v_cvt_f32_f16_e32 v29, v23
	v_lshrrev_b32_e32 v30, 16, v22
	v_cvt_f32_f16_e32 v31, v22
	v_cvt_f32_f16_e32 v32, v28
	;; [unrolled: 1-line block ×3, first 2 shown]
	v_mul_f32_e32 v34, v29, v27
	v_mul_f32_e32 v35, v31, v27
	v_mul_f32_e32 v36, v32, v26
	v_mad_f32 v37, -v24, v34, v29
	v_mul_f32_e32 v38, v33, v26
	v_mad_f32 v39, -v24, v35, v31
	v_mad_f32 v40, -v21, v36, v32
	v_mac_f32_e32 v34, v37, v27
	v_mad_f32 v37, -v21, v38, v33
	v_mac_f32_e32 v35, v39, v27
	v_mac_f32_e32 v36, v40, v26
	;; [unrolled: 1-line block ×3, first 2 shown]
	v_mad_f32 v29, -v24, v34, v29
	v_mad_f32 v24, -v24, v35, v31
	;; [unrolled: 1-line block ×4, first 2 shown]
	v_mul_f32_e32 v29, v29, v27
	v_mul_f32_e32 v24, v24, v27
	;; [unrolled: 1-line block ×4, first 2 shown]
	v_and_b32_e32 v29, 0xff800000, v29
	v_and_b32_e32 v24, 0xff800000, v24
	;; [unrolled: 1-line block ×4, first 2 shown]
	v_add_f32_e32 v27, v29, v34
	v_add_f32_e32 v24, v24, v35
	;; [unrolled: 1-line block ×4, first 2 shown]
	v_cvt_f16_f32_e32 v27, v27
	v_cvt_f16_f32_e32 v24, v24
	;; [unrolled: 1-line block ×4, first 2 shown]
	v_div_fixup_f16 v23, v27, v3, v23
	v_div_fixup_f16 v22, v24, v3, v22
	;; [unrolled: 1-line block ×4, first 2 shown]
	v_pack_b32_f16 v23, v23, v24
	v_pack_b32_f16 v22, v22, v21
	global_store_dwordx2 v[8:9], v[22:23], off
	v_add_co_u32_e32 v8, vcc, s50, v8
	v_addc_co_u32_e32 v9, vcc, v9, v25, vcc
	s_andn2_b64 exec, exec, s[12:13]
	s_cbranch_execnz .LBB2_36
; %bb.37:                               ;   in Loop: Header=BB2_5 Depth=1
	s_or_b64 exec, exec, s[12:13]
	v_mad_u64_u32 v[8:9], s[12:13], v6, s33, v[0:1]
	v_mov_b32_e32 v10, v9
	v_mad_u64_u32 v[10:11], s[12:13], v7, s33, v[10:11]
	v_cmp_ne_u64_e32 vcc, v[4:5], v[6:7]
	v_mov_b32_e32 v9, v10
	s_orn2_b64 s[12:13], vcc, exec
.LBB2_38:                               ;   in Loop: Header=BB2_5 Depth=1
	s_or_b64 exec, exec, s[10:11]
	s_and_b64 exec, exec, s[12:13]
	s_cbranch_execz .LBB2_2
; %bb.39:                               ;   in Loop: Header=BB2_5 Depth=1
	s_mul_i32 s10, s26, s35
	s_mul_hi_u32 s11, s26, s34
	s_add_i32 s10, s11, s10
	s_mul_i32 s11, s27, s34
	s_add_i32 s10, s10, s11
	s_mul_i32 s11, s26, s34
	s_add_u32 s11, s16, s11
	v_lshlrev_b64 v[4:5], 1, v[8:9]
	s_addc_u32 s10, s17, s10
	v_mov_b32_e32 v3, s10
	v_add_co_u32_e32 v4, vcc, s11, v4
	v_addc_co_u32_e32 v5, vcc, v3, v5, vcc
	s_lshl_b32 s12, s33, 1
	s_mov_b32 s13, s7
	s_mov_b64 s[10:11], 0
.LBB2_40:                               ;   Parent Loop BB2_5 Depth=1
                                        ; =>  This Inner Loop Header: Depth=2
	global_load_ushort v3, v[4:5], off
	v_cvt_f32_f16_e32 v6, v19
	v_mov_b32_e32 v11, s7
	v_add_co_u32_e32 v8, vcc, s33, v8
	v_rcp_f32_e32 v7, v6
	v_addc_co_u32_e32 v9, vcc, v9, v11, vcc
	v_cmp_le_i64_e32 vcc, s[14:15], v[8:9]
	v_mov_b32_e32 v20, s13
	s_or_b64 s[10:11], vcc, s[10:11]
	s_waitcnt vmcnt(0)
	v_cvt_f32_f16_e32 v10, v3
	v_mul_f32_e32 v21, v10, v7
	v_mad_f32 v22, -v6, v21, v10
	v_mac_f32_e32 v21, v22, v7
	v_mad_f32 v6, -v6, v21, v10
	v_mul_f32_e32 v6, v6, v7
	v_and_b32_e32 v6, 0xff800000, v6
	v_add_f32_e32 v6, v6, v21
	v_cvt_f16_f32_e32 v6, v6
	v_div_fixup_f16 v3, v6, v19, v3
	global_store_short v[4:5], v3, off
	v_add_co_u32_e32 v4, vcc, s12, v4
	v_addc_co_u32_e32 v5, vcc, v5, v20, vcc
	s_andn2_b64 exec, exec, s[10:11]
	s_cbranch_execnz .LBB2_40
	s_branch .LBB2_2
.LBB2_41:
	s_or_b64 exec, exec, s[24:25]
	s_xor_b64 s[2:3], s[30:31], -1
	s_mov_b64 s[0:1], 0
	s_and_saveexec_b64 s[4:5], s[2:3]
	s_xor_b64 s[2:3], exec, s[4:5]
	s_cbranch_execnz .LBB2_46
; %bb.42:
	s_andn2_saveexec_b64 s[2:3], s[2:3]
	s_cbranch_execnz .LBB2_48
.LBB2_43:
	s_or_b64 exec, exec, s[2:3]
	s_and_saveexec_b64 s[2:3], s[0:1]
.LBB2_44:
	; divergent unreachable
.LBB2_45:
	s_endpgm
.LBB2_46:
	s_and_saveexec_b64 s[4:5], s[22:23]
	s_xor_b64 s[4:5], exec, s[4:5]
	s_cbranch_execnz .LBB2_49
.LBB2_47:
	s_or_b64 exec, exec, s[4:5]
	s_and_b64 s[0:1], s[0:1], exec
	s_andn2_saveexec_b64 s[2:3], s[2:3]
	s_cbranch_execz .LBB2_43
.LBB2_48:
	s_or_b64 s[0:1], s[0:1], exec
	s_trap 2
	s_or_b64 exec, exec, s[2:3]
	s_and_saveexec_b64 s[2:3], s[0:1]
	s_cbranch_execnz .LBB2_44
	s_branch .LBB2_45
.LBB2_49:
	s_mov_b64 s[0:1], exec
	s_trap 2
	s_branch .LBB2_47
	.section	.rodata,"a",@progbits
	.p2align	6, 0x0
	.amdhsa_kernel _ZN2at6native12_GLOBAL__N_112renormRowsL1IN3c104HalfEEEvPT_ll
		.amdhsa_group_segment_fixed_size 0
		.amdhsa_private_segment_fixed_size 0
		.amdhsa_kernarg_size 280
		.amdhsa_user_sgpr_count 6
		.amdhsa_user_sgpr_private_segment_buffer 1
		.amdhsa_user_sgpr_dispatch_ptr 0
		.amdhsa_user_sgpr_queue_ptr 0
		.amdhsa_user_sgpr_kernarg_segment_ptr 1
		.amdhsa_user_sgpr_dispatch_id 0
		.amdhsa_user_sgpr_flat_scratch_init 0
		.amdhsa_user_sgpr_kernarg_preload_length 0
		.amdhsa_user_sgpr_kernarg_preload_offset 0
		.amdhsa_user_sgpr_private_segment_size 0
		.amdhsa_uses_dynamic_stack 0
		.amdhsa_system_sgpr_private_segment_wavefront_offset 0
		.amdhsa_system_sgpr_workgroup_id_x 1
		.amdhsa_system_sgpr_workgroup_id_y 0
		.amdhsa_system_sgpr_workgroup_id_z 0
		.amdhsa_system_sgpr_workgroup_info 0
		.amdhsa_system_vgpr_workitem_id 0
		.amdhsa_next_free_vgpr 41
		.amdhsa_next_free_sgpr 60
		.amdhsa_accum_offset 44
		.amdhsa_reserve_vcc 1
		.amdhsa_reserve_flat_scratch 0
		.amdhsa_float_round_mode_32 0
		.amdhsa_float_round_mode_16_64 0
		.amdhsa_float_denorm_mode_32 3
		.amdhsa_float_denorm_mode_16_64 3
		.amdhsa_dx10_clamp 1
		.amdhsa_ieee_mode 1
		.amdhsa_fp16_overflow 0
		.amdhsa_tg_split 0
		.amdhsa_exception_fp_ieee_invalid_op 0
		.amdhsa_exception_fp_denorm_src 0
		.amdhsa_exception_fp_ieee_div_zero 0
		.amdhsa_exception_fp_ieee_overflow 0
		.amdhsa_exception_fp_ieee_underflow 0
		.amdhsa_exception_fp_ieee_inexact 0
		.amdhsa_exception_int_div_zero 0
	.end_amdhsa_kernel
	.section	.text._ZN2at6native12_GLOBAL__N_112renormRowsL1IN3c104HalfEEEvPT_ll,"axG",@progbits,_ZN2at6native12_GLOBAL__N_112renormRowsL1IN3c104HalfEEEvPT_ll,comdat
.Lfunc_end2:
	.size	_ZN2at6native12_GLOBAL__N_112renormRowsL1IN3c104HalfEEEvPT_ll, .Lfunc_end2-_ZN2at6native12_GLOBAL__N_112renormRowsL1IN3c104HalfEEEvPT_ll
                                        ; -- End function
	.section	.AMDGPU.csdata,"",@progbits
; Kernel info:
; codeLenInByte = 2820
; NumSgprs: 64
; NumVgprs: 41
; NumAgprs: 0
; TotalNumVgprs: 41
; ScratchSize: 0
; MemoryBound: 0
; FloatMode: 240
; IeeeMode: 1
; LDSByteSize: 0 bytes/workgroup (compile time only)
; SGPRBlocks: 7
; VGPRBlocks: 5
; NumSGPRsForWavesPerEU: 64
; NumVGPRsForWavesPerEU: 41
; AccumOffset: 44
; Occupancy: 8
; WaveLimiterHint : 0
; COMPUTE_PGM_RSRC2:SCRATCH_EN: 0
; COMPUTE_PGM_RSRC2:USER_SGPR: 6
; COMPUTE_PGM_RSRC2:TRAP_HANDLER: 0
; COMPUTE_PGM_RSRC2:TGID_X_EN: 1
; COMPUTE_PGM_RSRC2:TGID_Y_EN: 0
; COMPUTE_PGM_RSRC2:TGID_Z_EN: 0
; COMPUTE_PGM_RSRC2:TIDIG_COMP_CNT: 0
; COMPUTE_PGM_RSRC3_GFX90A:ACCUM_OFFSET: 10
; COMPUTE_PGM_RSRC3_GFX90A:TG_SPLIT: 0
	.section	.text._ZN2at6native12_GLOBAL__N_112renormRowsL1IN3c108BFloat16EEEvPT_ll,"axG",@progbits,_ZN2at6native12_GLOBAL__N_112renormRowsL1IN3c108BFloat16EEEvPT_ll,comdat
	.globl	_ZN2at6native12_GLOBAL__N_112renormRowsL1IN3c108BFloat16EEEvPT_ll ; -- Begin function _ZN2at6native12_GLOBAL__N_112renormRowsL1IN3c108BFloat16EEEvPT_ll
	.p2align	8
	.type	_ZN2at6native12_GLOBAL__N_112renormRowsL1IN3c108BFloat16EEEvPT_ll,@function
_ZN2at6native12_GLOBAL__N_112renormRowsL1IN3c108BFloat16EEEvPT_ll: ; @_ZN2at6native12_GLOBAL__N_112renormRowsL1IN3c108BFloat16EEEvPT_ll
; %bb.0:
	s_load_dwordx4 s[16:19], s[4:5], 0x0
	s_mov_b32 s7, 0
	s_waitcnt lgkmcnt(0)
	v_pk_mov_b32 v[2:3], s[18:19], s[18:19] op_sel:[0,1]
	v_cmp_ge_i64_e32 vcc, s[6:7], v[2:3]
	s_cbranch_vccnz .LBB3_43
; %bb.1:
	s_load_dwordx2 s[20:21], s[4:5], 0x10
	v_mov_b32_e32 v2, 0
	v_and_b32_e32 v3, 63, v0
	v_mov_b32_e32 v1, v2
	v_cmp_eq_u32_e64 s[2:3], 0, v3
	v_lshl_add_u32 v12, v3, 1, 0
	v_mbcnt_lo_u32_b32 v3, -1, 0
	s_add_u32 s22, s4, 24
	v_lshrrev_b32_e32 v4, 5, v0
	s_waitcnt lgkmcnt(0)
	v_cmp_le_i64_e32 vcc, s[20:21], v[0:1]
	v_mbcnt_hi_u32_b32 v16, -1, v3
	s_addc_u32 s23, s5, 0
	v_cmp_gt_i64_e64 s[0:1], s[20:21], v[0:1]
	v_cmp_gt_u32_e64 s[4:5], 64, v0
	v_cmp_eq_u32_e64 s[8:9], 0, v0
	s_lshl_b64 s[26:27], s[20:21], 1
	s_mov_b64 s[24:25], 0
	s_movk_i32 s33, 0x7fff
	v_add_u32_e32 v13, 0, v4
	s_xor_b64 s[30:31], vcc, -1
	s_mov_b32 s56, 0x5040100
	v_lshlrev_b32_e32 v14, 1, v0
	v_mov_b32_e32 v15, 0x7fc0
	v_and_b32_e32 v17, 63, v16
	v_mov_b32_e32 v18, 0x7fc00000
	v_mov_b32_e32 v19, 0x4f800000
	s_mov_b64 s[36:37], s[6:7]
                                        ; implicit-def: $sgpr34_sgpr35
                                        ; implicit-def: $sgpr28_sgpr29
                                        ; implicit-def: $sgpr38_sgpr39
                                        ; implicit-def: $sgpr40_sgpr41
                                        ; implicit-def: $vgpr20
	s_branch .LBB3_5
.LBB3_2:                                ;   in Loop: Header=BB3_5 Depth=1
	s_or_b64 exec, exec, s[50:51]
	s_add_u32 s36, s36, s6
	s_addc_u32 s37, s37, 0
	v_pk_mov_b32 v[4:5], s[18:19], s[18:19] op_sel:[0,1]
	v_cmp_ge_i64_e32 vcc, s[36:37], v[4:5]
	s_andn2_b64 s[46:47], s[46:47], exec
	s_andn2_b64 s[44:45], s[44:45], exec
	s_orn2_b64 s[10:11], vcc, exec
.LBB3_3:                                ;   in Loop: Header=BB3_5 Depth=1
	s_or_b64 exec, exec, s[48:49]
	s_andn2_b64 s[12:13], s[40:41], exec
	s_and_b64 s[14:15], s[46:47], exec
	s_or_b64 s[40:41], s[12:13], s[14:15]
	s_andn2_b64 s[12:13], s[38:39], exec
	s_and_b64 s[14:15], s[44:45], exec
	s_or_b64 s[38:39], s[12:13], s[14:15]
	s_orn2_b64 s[10:11], s[10:11], exec
.LBB3_4:                                ;   in Loop: Header=BB3_5 Depth=1
	s_or_b64 exec, exec, s[42:43]
	s_and_b64 s[10:11], exec, s[10:11]
	s_or_b64 s[24:25], s[10:11], s[24:25]
	s_andn2_b64 s[10:11], s[28:29], exec
	s_and_b64 s[12:13], s[40:41], exec
	s_or_b64 s[28:29], s[10:11], s[12:13]
	s_andn2_b64 s[10:11], s[34:35], exec
	s_and_b64 s[12:13], s[38:39], exec
	s_or_b64 s[34:35], s[10:11], s[12:13]
	s_andn2_b64 exec, exec, s[24:25]
	s_cbranch_execz .LBB3_39
.LBB3_5:                                ; =>This Loop Header: Depth=1
                                        ;     Child Loop BB3_10 Depth 2
                                        ;     Child Loop BB3_34 Depth 2
	;; [unrolled: 1-line block ×3, first 2 shown]
	s_mov_b64 s[12:13], -1
	v_mov_b32_e32 v3, 0
                                        ; implicit-def: $sgpr42_sgpr43
                                        ; implicit-def: $sgpr44_sgpr45
	s_and_saveexec_b64 s[10:11], s[0:1]
	s_cbranch_execz .LBB3_15
; %bb.6:                                ;   in Loop: Header=BB3_5 Depth=1
	s_mul_i32 s6, s36, s21
	s_mul_hi_u32 s12, s36, s20
	s_add_i32 s6, s12, s6
	s_mul_i32 s12, s37, s20
	s_add_i32 s13, s6, s12
	s_mul_i32 s12, s36, s20
	s_lshl_b64 s[12:13], s[12:13], 1
	s_add_u32 s12, s16, s12
	s_addc_u32 s13, s17, s13
	global_load_ushort v20, v14, s[12:13]
	s_mov_b64 s[42:43], -1
	s_mov_b64 s[14:15], 0
	v_mov_b32_e32 v3, 0
	s_mov_b64 s[46:47], 0
	s_waitcnt vmcnt(0)
	v_lshlrev_b32_e32 v4, 16, v20
	v_cmp_ngt_f32_e32 vcc, 0, v4
	s_and_saveexec_b64 s[12:13], vcc
	s_cbranch_execz .LBB3_14
; %bb.7:                                ;   in Loop: Header=BB3_5 Depth=1
	s_load_dword s6, s[22:23], 0xc
	v_add_f32_e32 v3, 0, v4
	v_bfe_u32 v5, v3, 16, 1
	v_add3_u32 v3, v3, v5, s33
	v_lshrrev_b32_e32 v3, 16, v3
	v_cmp_o_f32_e32 vcc, v4, v4
	s_waitcnt lgkmcnt(0)
	s_and_b32 s6, s6, 0xffff
	v_cndmask_b32_e32 v3, v15, v3, vcc
	v_add_co_u32_e32 v4, vcc, s6, v0
	v_addc_co_u32_e64 v5, s[14:15], 0, 0, vcc
	v_cmp_gt_i64_e32 vcc, s[20:21], v[4:5]
	s_mov_b64 s[14:15], -1
	s_mov_b64 s[48:49], 0
	s_mov_b64 s[44:45], -1
	s_and_saveexec_b64 s[42:43], vcc
	s_cbranch_execz .LBB3_13
; %bb.8:                                ;   in Loop: Header=BB3_5 Depth=1
	s_mul_i32 s44, s26, s37
	s_mul_hi_u32 s45, s26, s36
	s_add_i32 s44, s45, s44
	s_mul_i32 s45, s27, s36
	s_add_i32 s44, s44, s45
	s_mul_i32 s45, s26, s36
	s_add_u32 s45, s16, s45
	v_lshlrev_b32_e32 v6, 1, v4
	s_addc_u32 s44, s17, s44
	v_mov_b32_e32 v7, s44
	v_add_co_u32_e32 v6, vcc, s45, v6
	v_addc_co_u32_e32 v7, vcc, 0, v7, vcc
	s_lshl_b32 s54, s6, 1
	s_mov_b32 s55, s7
	s_mov_b64 s[44:45], 0
                                        ; implicit-def: $sgpr46_sgpr47
                                        ; implicit-def: $sgpr50_sgpr51
                                        ; implicit-def: $sgpr48_sgpr49
	s_branch .LBB3_10
.LBB3_9:                                ;   in Loop: Header=BB3_10 Depth=2
	s_or_b64 exec, exec, s[52:53]
	s_xor_b64 s[52:53], s[48:49], -1
	s_and_b64 s[58:59], exec, s[50:51]
	s_or_b64 s[44:45], s[58:59], s[44:45]
	s_andn2_b64 s[46:47], s[46:47], exec
	s_and_b64 s[52:53], s[52:53], exec
	s_or_b64 s[46:47], s[46:47], s[52:53]
	s_andn2_b64 exec, exec, s[44:45]
	s_cbranch_execz .LBB3_12
.LBB3_10:                               ;   Parent Loop BB3_5 Depth=1
                                        ; =>  This Inner Loop Header: Depth=2
	global_load_ushort v20, v[6:7], off
	s_or_b64 s[48:49], s[48:49], exec
	s_or_b64 s[50:51], s[50:51], exec
	s_waitcnt vmcnt(0)
	v_lshlrev_b32_e32 v8, 16, v20
	v_cmp_ngt_f32_e32 vcc, 0, v8
	s_and_saveexec_b64 s[52:53], vcc
	s_cbranch_execz .LBB3_9
; %bb.11:                               ;   in Loop: Header=BB3_10 Depth=2
	v_lshlrev_b32_e32 v3, 16, v3
	v_add_f32_e32 v3, v3, v8
	v_bfe_u32 v8, v3, 16, 1
	v_add3_u32 v8, v3, v8, s33
	v_lshrrev_b32_e32 v8, 16, v8
	v_cmp_o_f32_e32 vcc, v3, v3
	v_cndmask_b32_e32 v3, v15, v8, vcc
	v_mov_b32_e32 v8, s7
	v_add_co_u32_e32 v4, vcc, s6, v4
	v_addc_co_u32_e32 v5, vcc, v5, v8, vcc
	v_mov_b32_e32 v8, s55
	v_add_co_u32_e32 v6, vcc, s54, v6
	v_addc_co_u32_e32 v7, vcc, v7, v8, vcc
	v_cmp_le_i64_e32 vcc, s[20:21], v[4:5]
	s_andn2_b64 s[50:51], s[50:51], exec
	s_and_b64 s[58:59], vcc, exec
	s_andn2_b64 s[48:49], s[48:49], exec
	s_or_b64 s[50:51], s[50:51], s[58:59]
	s_branch .LBB3_9
.LBB3_12:                               ;   in Loop: Header=BB3_5 Depth=1
	s_or_b64 exec, exec, s[44:45]
	s_mov_b64 s[48:49], 0
	s_orn2_b64 s[44:45], s[46:47], exec
.LBB3_13:                               ;   in Loop: Header=BB3_5 Depth=1
	s_or_b64 exec, exec, s[42:43]
	s_and_b64 s[46:47], s[48:49], exec
	s_orn2_b64 s[42:43], s[14:15], exec
	s_and_b64 s[14:15], s[44:45], exec
.LBB3_14:                               ;   in Loop: Header=BB3_5 Depth=1
	s_or_b64 exec, exec, s[12:13]
	s_and_b64 s[44:45], s[46:47], exec
	s_and_b64 s[42:43], s[42:43], exec
	s_orn2_b64 s[12:13], s[14:15], exec
.LBB3_15:                               ;   in Loop: Header=BB3_5 Depth=1
	s_or_b64 exec, exec, s[10:11]
	s_andn2_b64 s[14:15], s[40:41], exec
	s_and_b64 s[40:41], s[44:45], exec
	s_or_b64 s[40:41], s[14:15], s[40:41]
	s_andn2_b64 s[14:15], s[38:39], exec
	s_and_b64 s[38:39], s[42:43], exec
	s_mov_b64 s[10:11], -1
	s_or_b64 s[38:39], s[14:15], s[38:39]
	s_and_saveexec_b64 s[42:43], s[12:13]
	s_cbranch_execz .LBB3_4
; %bb.16:                               ;   in Loop: Header=BB3_5 Depth=1
	v_cmp_gt_u32_e32 vcc, 32, v17
	v_lshlrev_b32_e32 v4, 16, v3
	v_cndmask_b32_e64 v3, 0, 1, vcc
	v_lshlrev_b32_e32 v3, 5, v3
	v_add_lshl_u32 v3, v3, v16, 2
	ds_bpermute_b32 v5, v3, v4
	s_waitcnt lgkmcnt(0)
	s_barrier
	v_bfe_u32 v6, v5, 16, 1
	v_add3_u32 v6, v5, v6, s33
	v_and_b32_e32 v6, 0xffff0000, v6
	v_cmp_o_f32_e32 vcc, v5, v5
	v_cndmask_b32_e32 v5, v18, v6, vcc
	v_add_f32_e32 v4, v5, v4
	v_bfe_u32 v5, v4, 16, 1
	v_add3_u32 v5, v4, v5, s33
	v_and_b32_e32 v5, 0xffff0000, v5
	v_cmp_o_f32_e32 vcc, v4, v4
	v_cndmask_b32_e32 v5, v18, v5, vcc
	v_cmp_gt_u32_e32 vcc, 48, v17
	v_cndmask_b32_e64 v4, 0, 1, vcc
	v_lshlrev_b32_e32 v4, 4, v4
	v_add_lshl_u32 v4, v4, v16, 2
	ds_bpermute_b32 v6, v4, v5
	s_waitcnt lgkmcnt(0)
	v_bfe_u32 v7, v6, 16, 1
	v_add3_u32 v7, v6, v7, s33
	v_and_b32_e32 v7, 0xffff0000, v7
	v_cmp_o_f32_e32 vcc, v6, v6
	v_cndmask_b32_e32 v6, v18, v7, vcc
	v_add_f32_e32 v5, v6, v5
	v_bfe_u32 v6, v5, 16, 1
	v_add3_u32 v6, v5, v6, s33
	v_and_b32_e32 v6, 0xffff0000, v6
	v_cmp_o_f32_e32 vcc, v5, v5
	v_cndmask_b32_e32 v6, v18, v6, vcc
	v_cmp_gt_u32_e32 vcc, 56, v17
	v_cndmask_b32_e64 v5, 0, 1, vcc
	v_lshlrev_b32_e32 v5, 3, v5
	v_add_lshl_u32 v5, v5, v16, 2
	ds_bpermute_b32 v7, v5, v6
	s_waitcnt lgkmcnt(0)
	;; [unrolled: 17-line block ×4, first 2 shown]
	v_bfe_u32 v10, v9, 16, 1
	v_add3_u32 v10, v9, v10, s33
	v_and_b32_e32 v10, 0xffff0000, v10
	v_cmp_o_f32_e32 vcc, v9, v9
	v_cndmask_b32_e32 v9, v18, v10, vcc
	v_add_f32_e32 v8, v9, v8
	v_bfe_u32 v9, v8, 16, 1
	v_add3_u32 v9, v8, v9, s33
	v_and_b32_e32 v9, 0xffff0000, v9
	v_cmp_o_f32_e32 vcc, v8, v8
	v_cndmask_b32_e32 v9, v18, v9, vcc
	v_cmp_ne_u32_e32 vcc, 63, v17
	v_addc_co_u32_e32 v8, vcc, 0, v16, vcc
	v_lshlrev_b32_e32 v8, 2, v8
	ds_bpermute_b32 v10, v8, v9
	s_and_saveexec_b64 s[10:11], s[2:3]
	s_cbranch_execz .LBB3_18
; %bb.17:                               ;   in Loop: Header=BB3_5 Depth=1
	s_waitcnt lgkmcnt(0)
	v_bfe_u32 v11, v10, 16, 1
	v_add3_u32 v11, v10, v11, s33
	v_and_b32_e32 v11, 0xffff0000, v11
	v_cmp_o_f32_e32 vcc, v10, v10
	v_cndmask_b32_e32 v10, v18, v11, vcc
	v_add_f32_e32 v9, v10, v9
	v_bfe_u32 v10, v9, 16, 1
	v_add3_u32 v10, v9, v10, s33
	v_lshrrev_b32_e32 v10, 16, v10
	v_cmp_o_f32_e32 vcc, v9, v9
	v_cndmask_b32_e32 v9, v15, v10, vcc
	ds_write_b16 v13, v9
.LBB3_18:                               ;   in Loop: Header=BB3_5 Depth=1
	s_or_b64 exec, exec, s[10:11]
	s_waitcnt lgkmcnt(0)
	s_barrier
	s_load_dword s52, s[22:23], 0xc
	s_load_dword s6, s[22:23], 0x0
	v_mov_b32_e32 v9, 0
	s_waitcnt lgkmcnt(0)
	s_bfe_u32 s10, s52, 0xa0006
	v_cmp_gt_u32_e32 vcc, s10, v0
	s_and_saveexec_b64 s[10:11], vcc
	s_cbranch_execz .LBB3_20
; %bb.19:                               ;   in Loop: Header=BB3_5 Depth=1
	ds_read_u16 v9, v12
.LBB3_20:                               ;   in Loop: Header=BB3_5 Depth=1
	s_or_b64 exec, exec, s[10:11]
	s_and_saveexec_b64 s[10:11], s[4:5]
	s_cbranch_execz .LBB3_22
; %bb.21:                               ;   in Loop: Header=BB3_5 Depth=1
	s_waitcnt lgkmcnt(0)
	v_lshlrev_b32_e32 v9, 16, v9
	ds_bpermute_b32 v3, v3, v9
	s_waitcnt lgkmcnt(0)
	v_bfe_u32 v10, v3, 16, 1
	v_add3_u32 v10, v3, v10, s33
	v_and_b32_e32 v10, 0xffff0000, v10
	v_cmp_o_f32_e32 vcc, v3, v3
	v_cndmask_b32_e32 v3, v18, v10, vcc
	v_add_f32_e32 v3, v3, v9
	v_bfe_u32 v9, v3, 16, 1
	v_add3_u32 v9, v3, v9, s33
	v_and_b32_e32 v9, 0xffff0000, v9
	v_cmp_o_f32_e32 vcc, v3, v3
	v_cndmask_b32_e32 v3, v18, v9, vcc
	ds_bpermute_b32 v4, v4, v3
	s_waitcnt lgkmcnt(0)
	v_bfe_u32 v9, v4, 16, 1
	v_add3_u32 v9, v4, v9, s33
	v_and_b32_e32 v9, 0xffff0000, v9
	v_cmp_o_f32_e32 vcc, v4, v4
	v_cndmask_b32_e32 v4, v18, v9, vcc
	v_add_f32_e32 v3, v4, v3
	v_bfe_u32 v4, v3, 16, 1
	v_add3_u32 v4, v3, v4, s33
	v_and_b32_e32 v4, 0xffff0000, v4
	v_cmp_o_f32_e32 vcc, v3, v3
	v_cndmask_b32_e32 v3, v18, v4, vcc
	;; [unrolled: 13-line block ×5, first 2 shown]
	ds_bpermute_b32 v4, v8, v3
	s_waitcnt lgkmcnt(0)
	v_bfe_u32 v5, v4, 16, 1
	v_add3_u32 v5, v4, v5, s33
	v_and_b32_e32 v5, 0xffff0000, v5
	v_cmp_o_f32_e32 vcc, v4, v4
	v_cndmask_b32_e32 v4, v18, v5, vcc
	v_add_f32_e32 v3, v4, v3
	v_bfe_u32 v4, v3, 16, 1
	v_add3_u32 v4, v3, v4, s33
	v_lshrrev_b32_e32 v4, 16, v4
	v_cmp_o_f32_e32 vcc, v3, v3
	v_cndmask_b32_e32 v9, v15, v4, vcc
.LBB3_22:                               ;   in Loop: Header=BB3_5 Depth=1
	s_or_b64 exec, exec, s[10:11]
	s_mov_b64 s[10:11], -1
	s_mov_b64 s[14:15], -1
                                        ; implicit-def: $sgpr46_sgpr47
                                        ; implicit-def: $sgpr44_sgpr45
	s_and_saveexec_b64 s[12:13], s[8:9]
	s_cbranch_execz .LBB3_26
; %bb.23:                               ;   in Loop: Header=BB3_5 Depth=1
	v_lshlrev_b32_e32 v3, 16, v20
	v_cmp_ngt_f32_e32 vcc, 0, v3
	s_mov_b64 s[44:45], 0
	s_mov_b64 s[14:15], 0
	s_and_saveexec_b64 s[46:47], vcc
	s_cbranch_execz .LBB3_25
; %bb.24:                               ;   in Loop: Header=BB3_5 Depth=1
	s_mov_b64 s[14:15], exec
	s_waitcnt lgkmcnt(0)
	ds_write_b16 v2, v9
.LBB3_25:                               ;   in Loop: Header=BB3_5 Depth=1
	s_or_b64 exec, exec, s[46:47]
	s_mov_b64 s[46:47], -1
	s_orn2_b64 s[14:15], s[14:15], exec
.LBB3_26:                               ;   in Loop: Header=BB3_5 Depth=1
	s_or_b64 exec, exec, s[12:13]
	s_and_saveexec_b64 s[48:49], s[14:15]
	s_cbranch_execz .LBB3_3
; %bb.27:                               ;   in Loop: Header=BB3_5 Depth=1
	s_waitcnt lgkmcnt(0)
	s_barrier
	ds_read_u16 v3, v2
	s_waitcnt lgkmcnt(0)
	v_lshlrev_b32_e32 v21, 16, v3
	v_cmp_lt_f32_e32 vcc, 0, v21
	s_and_b64 s[10:11], vcc, s[30:31]
	s_and_saveexec_b64 s[50:51], s[10:11]
	s_cbranch_execz .LBB3_2
; %bb.28:                               ;   in Loop: Header=BB3_5 Depth=1
	s_and_b32 s57, s52, 0xffff
	v_add_co_u32_e32 v4, vcc, s57, v0
	v_addc_co_u32_e64 v5, s[10:11], 0, 0, vcc
	v_cmp_gt_i64_e64 s[10:11], s[20:21], v[4:5]
	v_mov_b32_e32 v6, s20
	v_mov_b32_e32 v3, s21
	v_cndmask_b32_e64 v6, v4, v6, s[10:11]
	v_cndmask_b32_e64 v7, 0, 1, s[10:11]
	;; [unrolled: 1-line block ×3, first 2 shown]
	v_sub_co_u32_e32 v6, vcc, v6, v7
	v_subbrev_co_u32_e32 v3, vcc, 0, v3, vcc
	v_sub_co_u32_e32 v6, vcc, v6, v4
	v_subb_co_u32_e32 v3, vcc, v3, v5, vcc
	v_cmp_ne_u64_e32 vcc, 0, v[2:3]
                                        ; implicit-def: $vgpr4_vgpr5
	s_and_saveexec_b64 s[12:13], vcc
	s_xor_b64 s[14:15], exec, s[12:13]
	s_cbranch_execz .LBB3_30
; %bb.29:                               ;   in Loop: Header=BB3_5 Depth=1
	v_cvt_f32_u32_e32 v4, s57
	s_sub_u32 s12, 0, s57
	s_subb_u32 s13, 0, 0
	v_mac_f32_e32 v4, 0, v19
	v_rcp_f32_e32 v4, v4
	v_mul_f32_e32 v4, 0x5f7ffffc, v4
	v_mul_f32_e32 v5, 0x2f800000, v4
	v_trunc_f32_e32 v5, v5
	v_mac_f32_e32 v4, 0xcf800000, v5
	v_cvt_u32_f32_e32 v5, v5
	v_cvt_u32_f32_e32 v4, v4
	v_mul_lo_u32 v7, s12, v5
	v_mul_hi_u32 v9, s12, v4
	v_mul_lo_u32 v8, s13, v4
	v_add_u32_e32 v7, v9, v7
	v_mul_lo_u32 v10, s12, v4
	v_add_u32_e32 v7, v7, v8
	v_mul_hi_u32 v9, v4, v10
	v_mul_lo_u32 v11, v4, v7
	v_mul_hi_u32 v8, v4, v7
	v_add_co_u32_e32 v9, vcc, v9, v11
	v_addc_co_u32_e32 v8, vcc, 0, v8, vcc
	v_mul_hi_u32 v22, v5, v10
	v_mul_lo_u32 v10, v5, v10
	v_add_co_u32_e32 v9, vcc, v9, v10
	v_mul_hi_u32 v11, v5, v7
	v_addc_co_u32_e32 v8, vcc, v8, v22, vcc
	v_addc_co_u32_e32 v9, vcc, 0, v11, vcc
	v_mul_lo_u32 v7, v5, v7
	v_add_co_u32_e32 v7, vcc, v8, v7
	v_addc_co_u32_e32 v8, vcc, 0, v9, vcc
	v_add_co_u32_e32 v4, vcc, v4, v7
	v_addc_co_u32_e32 v5, vcc, v5, v8, vcc
	v_mul_lo_u32 v7, s12, v5
	v_mul_hi_u32 v8, s12, v4
	v_add_u32_e32 v7, v8, v7
	v_mul_lo_u32 v8, s13, v4
	v_add_u32_e32 v7, v7, v8
	v_mul_lo_u32 v9, s12, v4
	v_mul_hi_u32 v10, v5, v9
	v_mul_lo_u32 v11, v5, v9
	v_mul_lo_u32 v23, v4, v7
	v_mul_hi_u32 v9, v4, v9
	v_mul_hi_u32 v22, v4, v7
	v_add_co_u32_e32 v9, vcc, v9, v23
	v_addc_co_u32_e32 v22, vcc, 0, v22, vcc
	v_add_co_u32_e32 v9, vcc, v9, v11
	v_mul_hi_u32 v8, v5, v7
	v_addc_co_u32_e32 v9, vcc, v22, v10, vcc
	v_addc_co_u32_e32 v8, vcc, 0, v8, vcc
	v_mul_lo_u32 v7, v5, v7
	v_add_co_u32_e32 v7, vcc, v9, v7
	v_addc_co_u32_e32 v8, vcc, 0, v8, vcc
	v_add_co_u32_e32 v7, vcc, v4, v7
	v_addc_co_u32_e32 v8, vcc, v5, v8, vcc
	v_mad_u64_u32 v[4:5], s[12:13], v6, v8, 0
	v_mul_hi_u32 v9, v6, v7
	v_add_co_u32_e32 v10, vcc, v9, v4
	v_addc_co_u32_e32 v11, vcc, 0, v5, vcc
	v_mad_u64_u32 v[4:5], s[12:13], v3, v8, 0
	v_mad_u64_u32 v[8:9], s[12:13], v3, v7, 0
	v_add_co_u32_e32 v7, vcc, v10, v8
	v_addc_co_u32_e32 v7, vcc, v11, v9, vcc
	v_addc_co_u32_e32 v5, vcc, 0, v5, vcc
	v_add_co_u32_e32 v7, vcc, v7, v4
	v_addc_co_u32_e32 v10, vcc, 0, v5, vcc
	v_mad_u64_u32 v[4:5], s[12:13], s57, v7, 0
	v_mov_b32_e32 v8, v5
	v_mad_u64_u32 v[8:9], s[12:13], s57, v10, v[8:9]
	v_sub_co_u32_e32 v4, vcc, v6, v4
	v_subb_co_u32_e32 v3, vcc, v3, v8, vcc
	v_subrev_co_u32_e32 v5, vcc, s57, v4
	v_subbrev_co_u32_e32 v6, vcc, 0, v3, vcc
	v_cmp_le_u32_e32 vcc, s57, v5
	v_cndmask_b32_e64 v5, 0, -1, vcc
	v_cmp_eq_u32_e32 vcc, 0, v6
	v_cndmask_b32_e32 v5, -1, v5, vcc
	v_add_co_u32_e32 v6, vcc, 2, v7
	v_addc_co_u32_e32 v8, vcc, 0, v10, vcc
	v_add_co_u32_e32 v9, vcc, 1, v7
	v_cmp_le_u32_e64 s[12:13], s57, v4
	v_addc_co_u32_e32 v11, vcc, 0, v10, vcc
	v_cndmask_b32_e64 v4, 0, -1, s[12:13]
	v_cmp_eq_u32_e64 s[12:13], 0, v3
	v_cmp_ne_u32_e32 vcc, 0, v5
	v_cndmask_b32_e64 v3, -1, v4, s[12:13]
	v_cndmask_b32_e32 v5, v11, v8, vcc
	v_cmp_ne_u32_e64 s[12:13], 0, v3
	v_cndmask_b32_e32 v3, v9, v6, vcc
	v_cndmask_b32_e64 v5, v10, v5, s[12:13]
	v_cndmask_b32_e64 v4, v7, v3, s[12:13]
                                        ; implicit-def: $vgpr6
.LBB3_30:                               ;   in Loop: Header=BB3_5 Depth=1
	s_andn2_saveexec_b64 s[12:13], s[14:15]
	s_cbranch_execz .LBB3_32
; %bb.31:                               ;   in Loop: Header=BB3_5 Depth=1
	v_cvt_f32_u32_e32 v3, s57
	s_sub_i32 s14, 0, s57
	v_rcp_iflag_f32_e32 v3, v3
	v_mul_f32_e32 v3, 0x4f7ffffe, v3
	v_cvt_u32_f32_e32 v3, v3
	v_mul_lo_u32 v4, s14, v3
	v_mul_hi_u32 v4, v3, v4
	v_add_u32_e32 v3, v3, v4
	v_mul_hi_u32 v3, v6, v3
	v_mul_lo_u32 v4, v3, s57
	v_sub_u32_e32 v4, v6, v4
	v_add_u32_e32 v5, 1, v3
	v_subrev_u32_e32 v6, s57, v4
	v_cmp_le_u32_e32 vcc, s57, v4
	v_cndmask_b32_e32 v4, v4, v6, vcc
	v_cndmask_b32_e32 v3, v3, v5, vcc
	v_add_u32_e32 v5, 1, v3
	v_cmp_le_u32_e32 vcc, s57, v4
	v_cndmask_b32_e32 v4, v3, v5, vcc
	v_mov_b32_e32 v5, v2
.LBB3_32:                               ;   in Loop: Header=BB3_5 Depth=1
	s_or_b64 exec, exec, s[12:13]
	v_cndmask_b32_e64 v3, 1, 2, s[10:11]
	v_add_co_u32_e32 v4, vcc, v3, v4
	v_addc_co_u32_e32 v5, vcc, 0, v5, vcc
	s_cmp_eq_u32 s57, 1
	v_cmp_lt_u64_e32 vcc, 3, v[4:5]
	s_cselect_b64 s[10:11], -1, 0
	s_and_b64 s[12:13], vcc, s[10:11]
	s_mov_b64 s[10:11], -1
	v_pk_mov_b32 v[8:9], v[0:1], v[0:1] op_sel:[0,1]
	s_and_saveexec_b64 s[52:53], s[12:13]
	s_cbranch_execz .LBB3_36
; %bb.33:                               ;   in Loop: Header=BB3_5 Depth=1
	s_mul_i32 s10, s36, s21
	s_mul_hi_u32 s11, s36, s20
	s_add_i32 s10, s11, s10
	s_mul_i32 s11, s37, s20
	s_add_i32 s11, s10, s11
	s_mul_i32 s10, s36, s20
	s_lshl_b64 s[10:11], s[10:11], 1
	s_add_u32 s10, s16, s10
	s_addc_u32 s11, s17, s11
	v_and_b32_e32 v6, -4, v4
	v_mov_b32_e32 v7, v5
	v_mov_b32_e32 v3, s11
	v_add_co_u32_e32 v8, vcc, s10, v14
	v_addc_co_u32_e32 v9, vcc, 0, v3, vcc
	s_lshl_b32 s58, s57, 3
	s_mov_b32 s59, s7
	s_mov_b64 s[54:55], 0
	v_pk_mov_b32 v[10:11], v[6:7], v[6:7] op_sel:[0,1]
.LBB3_34:                               ;   Parent Loop BB3_5 Depth=1
                                        ; =>  This Inner Loop Header: Depth=2
	global_load_dwordx2 v[22:23], v[8:9], off
	v_add_co_u32_e32 v10, vcc, -4, v10
	v_addc_co_u32_e32 v11, vcc, -1, v11, vcc
	v_cmp_eq_u64_e32 vcc, 0, v[10:11]
	s_or_b64 s[54:55], vcc, s[54:55]
	v_mov_b32_e32 v3, s59
	s_waitcnt vmcnt(0)
	v_and_b32_e32 v25, 0xffff0000, v23
	v_lshlrev_b32_e32 v23, 16, v23
	v_div_scale_f32 v26, s[10:11], v21, v21, v23
	v_and_b32_e32 v24, 0xffff0000, v22
	v_div_scale_f32 v28, s[10:11], v21, v21, v25
	v_rcp_f32_e32 v34, v26
	v_lshlrev_b32_e32 v22, 16, v22
	v_div_scale_f32 v30, s[12:13], v21, v21, v24
	v_rcp_f32_e32 v35, v28
	v_div_scale_f32 v32, s[14:15], v21, v21, v22
	v_rcp_f32_e32 v36, v30
	v_rcp_f32_e32 v37, v32
	v_fma_f32 v38, -v26, v34, 1.0
	v_div_scale_f32 v27, vcc, v23, v21, v23
	v_fma_f32 v39, -v28, v35, 1.0
	v_fmac_f32_e32 v34, v38, v34
	v_div_scale_f32 v29, s[10:11], v25, v21, v25
	v_fma_f32 v40, -v30, v36, 1.0
	v_fmac_f32_e32 v35, v39, v35
	v_mul_f32_e32 v38, v27, v34
	v_div_scale_f32 v31, s[12:13], v24, v21, v24
	v_fma_f32 v41, -v32, v37, 1.0
	v_fmac_f32_e32 v36, v40, v36
	v_mul_f32_e32 v39, v29, v35
	v_fma_f32 v42, -v26, v38, v27
	v_div_scale_f32 v33, s[14:15], v22, v21, v22
	v_fmac_f32_e32 v37, v41, v37
	v_mul_f32_e32 v40, v31, v36
	v_fma_f32 v43, -v28, v39, v29
	v_fmac_f32_e32 v38, v42, v34
	v_mul_f32_e32 v41, v33, v37
	v_fma_f32 v44, -v30, v40, v31
	v_fmac_f32_e32 v39, v43, v35
	v_fma_f32 v26, -v26, v38, v27
	v_fma_f32 v45, -v32, v41, v33
	v_fmac_f32_e32 v40, v44, v36
	v_fma_f32 v27, -v28, v39, v29
	v_div_fmas_f32 v26, v26, v34, v38
	s_mov_b64 vcc, s[10:11]
	v_fmac_f32_e32 v41, v45, v37
	v_fma_f32 v28, -v30, v40, v31
	v_div_fixup_f32 v23, v26, v21, v23
	v_div_fmas_f32 v26, v27, v35, v39
	s_mov_b64 vcc, s[12:13]
	v_fma_f32 v29, -v32, v41, v33
	v_div_fixup_f32 v25, v26, v21, v25
	v_div_fmas_f32 v26, v28, v36, v40
	v_bfe_u32 v27, v23, 16, 1
	s_mov_b64 vcc, s[14:15]
	v_div_fixup_f32 v24, v26, v21, v24
	v_div_fmas_f32 v26, v29, v37, v41
	v_bfe_u32 v28, v25, 16, 1
	v_add3_u32 v27, v23, v27, s33
	v_div_fixup_f32 v22, v26, v21, v22
	v_bfe_u32 v26, v24, 16, 1
	v_add3_u32 v28, v25, v28, s33
	v_lshrrev_b32_e32 v27, 16, v27
	v_cmp_o_f32_e32 vcc, v23, v23
	v_bfe_u32 v29, v22, 16, 1
	v_add3_u32 v26, v24, v26, s33
	v_lshrrev_b32_e32 v28, 16, v28
	v_cndmask_b32_e32 v23, v15, v27, vcc
	v_cmp_o_f32_e32 vcc, v25, v25
	v_add3_u32 v27, v22, v29, s33
	v_lshrrev_b32_e32 v26, 16, v26
	v_cndmask_b32_e32 v25, v15, v28, vcc
	v_cmp_o_f32_e32 vcc, v24, v24
	v_lshrrev_b32_e32 v27, 16, v27
	v_cndmask_b32_e32 v24, v15, v26, vcc
	v_cmp_o_f32_e32 vcc, v22, v22
	v_cndmask_b32_e32 v22, v15, v27, vcc
	v_perm_b32 v23, v25, v23, s56
	v_perm_b32 v22, v24, v22, s56
	global_store_dwordx2 v[8:9], v[22:23], off
	v_add_co_u32_e32 v8, vcc, s58, v8
	v_addc_co_u32_e32 v9, vcc, v9, v3, vcc
	s_andn2_b64 exec, exec, s[54:55]
	s_cbranch_execnz .LBB3_34
; %bb.35:                               ;   in Loop: Header=BB3_5 Depth=1
	s_or_b64 exec, exec, s[54:55]
	v_mad_u64_u32 v[8:9], s[10:11], v6, s57, v[0:1]
	v_mov_b32_e32 v10, v9
	v_mad_u64_u32 v[10:11], s[10:11], v7, s57, v[10:11]
	v_cmp_ne_u64_e32 vcc, v[4:5], v[6:7]
	v_mov_b32_e32 v9, v10
	s_orn2_b64 s[10:11], vcc, exec
.LBB3_36:                               ;   in Loop: Header=BB3_5 Depth=1
	s_or_b64 exec, exec, s[52:53]
	s_and_b64 exec, exec, s[10:11]
	s_cbranch_execz .LBB3_2
; %bb.37:                               ;   in Loop: Header=BB3_5 Depth=1
	s_mul_i32 s10, s26, s37
	s_mul_hi_u32 s11, s26, s36
	s_add_i32 s10, s11, s10
	s_mul_i32 s11, s27, s36
	s_add_i32 s10, s10, s11
	s_mul_i32 s11, s26, s36
	s_add_u32 s11, s16, s11
	v_lshlrev_b64 v[4:5], 1, v[8:9]
	s_addc_u32 s10, s17, s10
	v_mov_b32_e32 v3, s10
	v_add_co_u32_e32 v4, vcc, s11, v4
	v_addc_co_u32_e32 v5, vcc, v3, v5, vcc
	s_lshl_b32 s12, s57, 1
	s_mov_b32 s13, s7
	s_mov_b64 s[10:11], 0
.LBB3_38:                               ;   Parent Loop BB3_5 Depth=1
                                        ; =>  This Inner Loop Header: Depth=2
	global_load_ushort v3, v[4:5], off
	v_mov_b32_e32 v6, s7
	v_add_co_u32_e32 v8, vcc, s57, v8
	v_addc_co_u32_e32 v9, vcc, v9, v6, vcc
	v_cmp_le_i64_e32 vcc, s[20:21], v[8:9]
	s_or_b64 s[10:11], vcc, s[10:11]
	v_mov_b32_e32 v7, s13
	s_waitcnt vmcnt(0)
	v_lshlrev_b32_e32 v3, 16, v3
	v_div_scale_f32 v6, s[14:15], v21, v21, v3
	v_rcp_f32_e32 v10, v6
	v_div_scale_f32 v11, vcc, v3, v21, v3
	v_fma_f32 v22, -v6, v10, 1.0
	v_fmac_f32_e32 v10, v22, v10
	v_mul_f32_e32 v22, v11, v10
	v_fma_f32 v23, -v6, v22, v11
	v_fmac_f32_e32 v22, v23, v10
	v_fma_f32 v6, -v6, v22, v11
	v_div_fmas_f32 v6, v6, v10, v22
	v_div_fixup_f32 v3, v6, v21, v3
	v_bfe_u32 v6, v3, 16, 1
	v_add3_u32 v6, v3, v6, s33
	v_lshrrev_b32_e32 v6, 16, v6
	v_cmp_o_f32_e32 vcc, v3, v3
	v_cndmask_b32_e32 v3, v15, v6, vcc
	global_store_short v[4:5], v3, off
	v_add_co_u32_e32 v4, vcc, s12, v4
	v_addc_co_u32_e32 v5, vcc, v5, v7, vcc
	s_andn2_b64 exec, exec, s[10:11]
	s_cbranch_execnz .LBB3_38
	s_branch .LBB3_2
.LBB3_39:
	s_or_b64 exec, exec, s[24:25]
	s_xor_b64 s[2:3], s[34:35], -1
	s_mov_b64 s[0:1], 0
	s_and_saveexec_b64 s[4:5], s[2:3]
	s_xor_b64 s[2:3], exec, s[4:5]
	s_cbranch_execnz .LBB3_44
; %bb.40:
	s_andn2_saveexec_b64 s[2:3], s[2:3]
	s_cbranch_execnz .LBB3_46
.LBB3_41:
	s_or_b64 exec, exec, s[2:3]
	s_and_saveexec_b64 s[2:3], s[0:1]
.LBB3_42:
	; divergent unreachable
.LBB3_43:
	s_endpgm
.LBB3_44:
	s_and_saveexec_b64 s[4:5], s[28:29]
	s_xor_b64 s[4:5], exec, s[4:5]
	s_cbranch_execnz .LBB3_47
.LBB3_45:
	s_or_b64 exec, exec, s[4:5]
	s_and_b64 s[0:1], s[0:1], exec
	s_andn2_saveexec_b64 s[2:3], s[2:3]
	s_cbranch_execz .LBB3_41
.LBB3_46:
	s_or_b64 s[0:1], s[0:1], exec
	s_trap 2
	s_or_b64 exec, exec, s[2:3]
	s_and_saveexec_b64 s[2:3], s[0:1]
	s_cbranch_execnz .LBB3_42
	s_branch .LBB3_43
.LBB3_47:
	s_mov_b64 s[0:1], exec
	s_trap 2
	s_branch .LBB3_45
	.section	.rodata,"a",@progbits
	.p2align	6, 0x0
	.amdhsa_kernel _ZN2at6native12_GLOBAL__N_112renormRowsL1IN3c108BFloat16EEEvPT_ll
		.amdhsa_group_segment_fixed_size 0
		.amdhsa_private_segment_fixed_size 0
		.amdhsa_kernarg_size 280
		.amdhsa_user_sgpr_count 6
		.amdhsa_user_sgpr_private_segment_buffer 1
		.amdhsa_user_sgpr_dispatch_ptr 0
		.amdhsa_user_sgpr_queue_ptr 0
		.amdhsa_user_sgpr_kernarg_segment_ptr 1
		.amdhsa_user_sgpr_dispatch_id 0
		.amdhsa_user_sgpr_flat_scratch_init 0
		.amdhsa_user_sgpr_kernarg_preload_length 0
		.amdhsa_user_sgpr_kernarg_preload_offset 0
		.amdhsa_user_sgpr_private_segment_size 0
		.amdhsa_uses_dynamic_stack 0
		.amdhsa_system_sgpr_private_segment_wavefront_offset 0
		.amdhsa_system_sgpr_workgroup_id_x 1
		.amdhsa_system_sgpr_workgroup_id_y 0
		.amdhsa_system_sgpr_workgroup_id_z 0
		.amdhsa_system_sgpr_workgroup_info 0
		.amdhsa_system_vgpr_workitem_id 0
		.amdhsa_next_free_vgpr 46
		.amdhsa_next_free_sgpr 60
		.amdhsa_accum_offset 48
		.amdhsa_reserve_vcc 1
		.amdhsa_reserve_flat_scratch 0
		.amdhsa_float_round_mode_32 0
		.amdhsa_float_round_mode_16_64 0
		.amdhsa_float_denorm_mode_32 3
		.amdhsa_float_denorm_mode_16_64 3
		.amdhsa_dx10_clamp 1
		.amdhsa_ieee_mode 1
		.amdhsa_fp16_overflow 0
		.amdhsa_tg_split 0
		.amdhsa_exception_fp_ieee_invalid_op 0
		.amdhsa_exception_fp_denorm_src 0
		.amdhsa_exception_fp_ieee_div_zero 0
		.amdhsa_exception_fp_ieee_overflow 0
		.amdhsa_exception_fp_ieee_underflow 0
		.amdhsa_exception_fp_ieee_inexact 0
		.amdhsa_exception_int_div_zero 0
	.end_amdhsa_kernel
	.section	.text._ZN2at6native12_GLOBAL__N_112renormRowsL1IN3c108BFloat16EEEvPT_ll,"axG",@progbits,_ZN2at6native12_GLOBAL__N_112renormRowsL1IN3c108BFloat16EEEvPT_ll,comdat
.Lfunc_end3:
	.size	_ZN2at6native12_GLOBAL__N_112renormRowsL1IN3c108BFloat16EEEvPT_ll, .Lfunc_end3-_ZN2at6native12_GLOBAL__N_112renormRowsL1IN3c108BFloat16EEEvPT_ll
                                        ; -- End function
	.section	.AMDGPU.csdata,"",@progbits
; Kernel info:
; codeLenInByte = 3860
; NumSgprs: 64
; NumVgprs: 46
; NumAgprs: 0
; TotalNumVgprs: 46
; ScratchSize: 0
; MemoryBound: 0
; FloatMode: 240
; IeeeMode: 1
; LDSByteSize: 0 bytes/workgroup (compile time only)
; SGPRBlocks: 7
; VGPRBlocks: 5
; NumSGPRsForWavesPerEU: 64
; NumVGPRsForWavesPerEU: 46
; AccumOffset: 48
; Occupancy: 8
; WaveLimiterHint : 0
; COMPUTE_PGM_RSRC2:SCRATCH_EN: 0
; COMPUTE_PGM_RSRC2:USER_SGPR: 6
; COMPUTE_PGM_RSRC2:TRAP_HANDLER: 0
; COMPUTE_PGM_RSRC2:TGID_X_EN: 1
; COMPUTE_PGM_RSRC2:TGID_Y_EN: 0
; COMPUTE_PGM_RSRC2:TGID_Z_EN: 0
; COMPUTE_PGM_RSRC2:TIDIG_COMP_CNT: 0
; COMPUTE_PGM_RSRC3_GFX90A:ACCUM_OFFSET: 11
; COMPUTE_PGM_RSRC3_GFX90A:TG_SPLIT: 0
	.section	.text._ZN2at6native12_GLOBAL__N_121sampleMultinomialOnceIddEEvPlliPKT_S6_ii,"axG",@progbits,_ZN2at6native12_GLOBAL__N_121sampleMultinomialOnceIddEEvPlliPKT_S6_ii,comdat
	.globl	_ZN2at6native12_GLOBAL__N_121sampleMultinomialOnceIddEEvPlliPKT_S6_ii ; -- Begin function _ZN2at6native12_GLOBAL__N_121sampleMultinomialOnceIddEEvPlliPKT_S6_ii
	.p2align	8
	.type	_ZN2at6native12_GLOBAL__N_121sampleMultinomialOnceIddEEvPlliPKT_S6_ii,@function
_ZN2at6native12_GLOBAL__N_121sampleMultinomialOnceIddEEvPlliPKT_S6_ii: ; @_ZN2at6native12_GLOBAL__N_121sampleMultinomialOnceIddEEvPlliPKT_S6_ii
; %bb.0:
	s_load_dwordx4 s[80:83], s[4:5], 0x0
	s_mov_b32 s7, 0
	s_waitcnt lgkmcnt(0)
	v_pk_mov_b32 v[2:3], s[82:83], s[82:83] op_sel:[0,1]
	v_cmp_ge_i64_e32 vcc, s[6:7], v[2:3]
	s_cbranch_vccnz .LBB4_88
; %bb.1:
	s_load_dword s33, s[4:5], 0x10
	s_load_dwordx2 s[14:15], s[4:5], 0x28
	s_load_dwordx4 s[20:23], s[4:5], 0x18
	v_lshlrev_b32_e32 v2, 3, v0
	v_add_u32_e32 v22, 8, v2
	v_add3_u32 v23, 8, -8, v2
	s_waitcnt lgkmcnt(0)
	s_ashr_i32 s16, s14, 31
	v_mul_lo_u32 v2, v0, s15
	s_add_u32 s26, s4, 48
	v_ashrrev_i32_e32 v3, 31, v2
	s_addc_u32 s27, s5, 0
	v_and_b32_e32 v1, 63, v0
	v_lshrrev_b32_e32 v4, 3, v0
	s_add_i32 s78, s33, -1
	v_lshlrev_b64 v[6:7], 3, v[2:3]
	v_mbcnt_lo_u32_b32 v2, -1, 0
	v_cmp_gt_i32_e64 s[0:1], s33, v0
	v_cmp_eq_u32_e64 s[2:3], 0, v1
	v_lshl_add_u32 v1, v1, 3, 8
	v_cmp_gt_u32_e64 s[4:5], 64, v0
	v_cmp_eq_u32_e64 s[8:9], 0, v0
	v_cmp_ne_u32_e64 s[10:11], 0, v0
	s_mul_i32 s79, s15, s78
	s_mov_b64 s[28:29], 0
	v_add_u32_e32 v24, 8, v4
	v_mov_b32_e32 v9, 0
	v_mbcnt_hi_u32_b32 v25, -1, v2
	v_mov_b32_e32 v26, 8
	v_mov_b32_e32 v27, 1
                                        ; implicit-def: $sgpr34_sgpr35
                                        ; implicit-def: $sgpr36_sgpr37
                                        ; implicit-def: $sgpr38_sgpr39
                                        ; implicit-def: $sgpr40_sgpr41
                                        ; implicit-def: $sgpr24_sgpr25
                                        ; implicit-def: $sgpr42_sgpr43
                                        ; implicit-def: $sgpr44_sgpr45
                                        ; implicit-def: $sgpr48_sgpr49
                                        ; implicit-def: $sgpr46_sgpr47
                                        ; implicit-def: $sgpr50_sgpr51
                                        ; implicit-def: $vgpr10_vgpr11
	s_branch .LBB4_5
.LBB4_2:                                ;   in Loop: Header=BB4_5 Depth=1
	s_or_b64 exec, exec, s[12:13]
	s_add_u32 s6, s6, s19
	s_addc_u32 s7, s7, 0
	v_pk_mov_b32 v[2:3], s[82:83], s[82:83] op_sel:[0,1]
	v_cmp_ge_i64_e32 vcc, s[6:7], v[2:3]
	s_andn2_b64 s[58:59], s[58:59], exec
	s_andn2_b64 s[56:57], s[56:57], exec
	;; [unrolled: 1-line block ×5, first 2 shown]
	s_orn2_b64 s[12:13], vcc, exec
.LBB4_3:                                ;   in Loop: Header=BB4_5 Depth=1
	s_or_b64 exec, exec, s[64:65]
	s_andn2_b64 s[18:19], s[50:51], exec
	s_and_b64 s[30:31], s[58:59], exec
	s_or_b64 s[50:51], s[18:19], s[30:31]
	s_andn2_b64 s[18:19], s[46:47], exec
	s_and_b64 s[30:31], s[56:57], exec
	s_or_b64 s[46:47], s[18:19], s[30:31]
	;; [unrolled: 3-line block ×5, first 2 shown]
	s_orn2_b64 s[12:13], s[12:13], exec
.LBB4_4:                                ;   in Loop: Header=BB4_5 Depth=1
	s_or_b64 exec, exec, s[52:53]
	s_and_b64 s[12:13], exec, s[12:13]
	s_or_b64 s[28:29], s[12:13], s[28:29]
	s_andn2_b64 s[12:13], s[24:25], exec
	s_and_b64 s[18:19], s[50:51], exec
	s_or_b64 s[24:25], s[12:13], s[18:19]
	s_andn2_b64 s[12:13], s[40:41], exec
	s_and_b64 s[18:19], s[46:47], exec
	;; [unrolled: 3-line block ×5, first 2 shown]
	s_or_b64 s[34:35], s[12:13], s[18:19]
	s_andn2_b64 exec, exec, s[28:29]
	s_cbranch_execz .LBB4_73
.LBB4_5:                                ; =>This Loop Header: Depth=1
                                        ;     Child Loop BB4_14 Depth 2
                                        ;     Child Loop BB4_42 Depth 2
                                        ;       Child Loop BB4_47 Depth 3
                                        ;       Child Loop BB4_55 Depth 3
                                        ;     Child Loop BB4_62 Depth 2
	s_waitcnt lgkmcnt(0)
	v_pk_mov_b32 v[2:3], 0, 0
	s_mov_b64 s[54:55], -1
                                        ; implicit-def: $sgpr52_sgpr53
                                        ; implicit-def: $sgpr56_sgpr57
                                        ; implicit-def: $sgpr60_sgpr61
                                        ; implicit-def: $sgpr62_sgpr63
	s_and_saveexec_b64 s[12:13], s[0:1]
	s_cbranch_execz .LBB4_23
; %bb.6:                                ;   in Loop: Header=BB4_5 Depth=1
	s_mul_i32 s17, s6, s16
	s_mul_hi_u32 s18, s6, s14
	s_add_i32 s17, s18, s17
	s_mul_i32 s18, s7, s14
	s_add_i32 s19, s17, s18
	s_mul_i32 s18, s6, s14
	s_lshl_b64 s[52:53], s[18:19], 3
	s_add_u32 s19, s22, s52
	s_addc_u32 s74, s23, s53
	v_mov_b32_e32 v3, s74
	v_add_co_u32_e32 v2, vcc, s19, v6
	v_addc_co_u32_e32 v3, vcc, v3, v7, vcc
	global_load_dwordx2 v[10:11], v[2:3], off
	s_mov_b64 s[58:59], -1
	s_mov_b64 s[54:55], 0
	v_pk_mov_b32 v[2:3], 0, 0
	s_mov_b64 s[56:57], 0
	s_mov_b64 s[64:65], 0
	;; [unrolled: 1-line block ×3, first 2 shown]
	s_waitcnt vmcnt(0)
	v_cmp_o_f64_e32 vcc, v[10:11], v[10:11]
	s_and_saveexec_b64 s[52:53], vcc
	s_cbranch_execz .LBB4_22
; %bb.7:                                ;   in Loop: Header=BB4_5 Depth=1
	s_mov_b32 s30, 0
	s_mov_b32 s31, 0x7ff00000
	v_cmp_neq_f64_e64 s[58:59], |v[10:11]|, s[30:31]
	s_mov_b64 s[56:57], -1
	s_mov_b64 s[60:61], 0
	v_pk_mov_b32 v[2:3], 0, 0
	s_mov_b64 s[62:63], 0
	s_mov_b64 s[68:69], 0
	s_and_saveexec_b64 s[54:55], s[58:59]
	s_cbranch_execz .LBB4_21
; %bb.8:                                ;   in Loop: Header=BB4_5 Depth=1
	s_mov_b64 s[58:59], 0
	v_cmp_ngt_f64_e32 vcc, 0, v[10:11]
	s_mov_b64 s[64:65], -1
	v_pk_mov_b32 v[2:3], 0, 0
	s_and_saveexec_b64 s[56:57], vcc
	s_cbranch_execz .LBB4_20
; %bb.9:                                ;   in Loop: Header=BB4_5 Depth=1
	s_load_dword s17, s[26:27], 0xc
	v_add_f64 v[2:3], v[10:11], 0
	s_mov_b64 s[60:61], -1
	s_mov_b64 s[70:71], -1
	s_mov_b64 s[72:73], 0
	s_waitcnt lgkmcnt(0)
	s_and_b32 s18, s17, 0xffff
	v_add_u32_e32 v8, s18, v0
	v_cmp_gt_i32_e32 vcc, s33, v8
	s_and_saveexec_b64 s[58:59], vcc
	s_cbranch_execz .LBB4_19
; %bb.10:                               ;   in Loop: Header=BB4_5 Depth=1
                                        ; implicit-def: $vgpr32 : SGPR spill to VGPR lane
	v_mul_lo_u32 v4, s15, v8
	v_writelane_b32 v32, s79, 0
	v_writelane_b32 v32, s78, 1
	;; [unrolled: 1-line block ×5, first 2 shown]
	s_mul_i32 s17, s15, s18
	v_mov_b32_e32 v12, s74
	v_writelane_b32 v32, s83, 5
                                        ; implicit-def: $sgpr60_sgpr61
                                        ; implicit-def: $sgpr70_sgpr71
                                        ; implicit-def: $sgpr68_sgpr69
                                        ; implicit-def: $sgpr66_sgpr67
                                        ; implicit-def: $sgpr64_sgpr65
                                        ; implicit-def: $sgpr74_sgpr75
                                        ; implicit-def: $sgpr72_sgpr73
                                        ; implicit-def: $sgpr76_sgpr77
                                        ; implicit-def: $sgpr78_sgpr79
                                        ; implicit-def: $sgpr80_sgpr81
                                        ; implicit-def: $sgpr82_sgpr83
	s_branch .LBB4_14
.LBB4_11:                               ;   in Loop: Header=BB4_14 Depth=2
	s_or_b64 exec, exec, s[90:91]
	s_mov_b64 s[90:91], exec
	s_orn2_b64 vcc, s[94:95], exec
	s_xor_b64 s[94:95], exec, -1
	s_orn2_b64 s[92:93], s[92:93], exec
.LBB4_12:                               ;   in Loop: Header=BB4_14 Depth=2
	s_or_b64 exec, exec, s[88:89]
	s_andn2_b64 s[30:31], s[82:83], exec
	s_and_b64 s[82:83], vcc, exec
	s_or_b64 s[82:83], s[30:31], s[82:83]
	s_andn2_b64 s[30:31], s[80:81], exec
	s_and_b64 s[86:87], s[86:87], exec
	s_or_b64 s[80:81], s[30:31], s[86:87]
	s_andn2_b64 s[30:31], s[78:79], exec
	s_and_b64 s[78:79], s[94:95], exec
	;; [unrolled: 3-line block ×3, first 2 shown]
	s_or_b64 s[76:77], s[30:31], s[76:77]
	s_andn2_b64 s[30:31], s[72:73], exec
	s_or_b64 s[72:73], s[30:31], s[86:87]
	s_andn2_b64 s[30:31], s[74:75], exec
	s_and_b64 s[74:75], s[92:93], exec
	s_or_b64 s[74:75], s[30:31], s[74:75]
.LBB4_13:                               ;   in Loop: Header=BB4_14 Depth=2
	s_or_b64 exec, exec, s[84:85]
	s_xor_b64 s[30:31], s[82:83], -1
	s_and_b64 s[84:85], exec, s[74:75]
	s_or_b64 s[62:63], s[84:85], s[62:63]
	s_andn2_b64 s[64:65], s[64:65], exec
	s_and_b64 s[84:85], s[80:81], exec
	s_or_b64 s[64:65], s[64:65], s[84:85]
	s_andn2_b64 s[66:67], s[66:67], exec
	s_and_b64 s[84:85], s[78:79], exec
	;; [unrolled: 3-line block ×4, first 2 shown]
	s_andn2_b64 s[60:61], s[60:61], exec
	s_and_b64 s[30:31], s[30:31], exec
	s_or_b64 s[70:71], s[70:71], s[84:85]
	s_or_b64 s[60:61], s[60:61], s[30:31]
	s_andn2_b64 exec, exec, s[62:63]
	s_cbranch_execz .LBB4_18
.LBB4_14:                               ;   Parent Loop BB4_5 Depth=1
                                        ; =>  This Inner Loop Header: Depth=2
	v_ashrrev_i32_e32 v5, 31, v4
	v_lshlrev_b64 v[10:11], 3, v[4:5]
	v_add_co_u32_e32 v10, vcc, s19, v10
	v_addc_co_u32_e32 v11, vcc, v12, v11, vcc
	global_load_dwordx2 v[10:11], v[10:11], off
	s_or_b64 s[82:83], s[82:83], exec
	s_or_b64 s[80:81], s[80:81], exec
	s_andn2_b64 s[78:79], s[78:79], exec
	s_andn2_b64 s[76:77], s[76:77], exec
	;; [unrolled: 1-line block ×3, first 2 shown]
	s_or_b64 s[74:75], s[74:75], exec
	s_waitcnt vmcnt(0)
	v_cmp_o_f64_e32 vcc, v[10:11], v[10:11]
	s_and_saveexec_b64 s[84:85], vcc
	s_cbranch_execz .LBB4_13
; %bb.15:                               ;   in Loop: Header=BB4_14 Depth=2
	s_mov_b32 s30, 0
	s_mov_b32 s31, 0x7ff00000
	v_cmp_neq_f64_e64 s[30:31], |v[10:11]|, s[30:31]
	s_mov_b64 s[86:87], 0
	s_mov_b64 s[92:93], -1
	s_mov_b64 s[90:91], 0
	s_mov_b64 s[94:95], -1
	s_mov_b64 vcc, -1
	s_and_saveexec_b64 s[88:89], s[30:31]
	s_cbranch_execz .LBB4_12
; %bb.16:                               ;   in Loop: Header=BB4_14 Depth=2
	v_cmp_ngt_f64_e32 vcc, 0, v[10:11]
	s_and_saveexec_b64 s[90:91], vcc
	s_cbranch_execz .LBB4_11
; %bb.17:                               ;   in Loop: Header=BB4_14 Depth=2
	v_add_u32_e32 v8, s18, v8
	v_cmp_le_i32_e32 vcc, s33, v8
	v_add_f64 v[2:3], v[2:3], v[10:11]
	v_add_u32_e32 v4, s17, v4
	s_xor_b64 s[94:95], exec, -1
	s_orn2_b64 s[92:93], vcc, exec
	s_branch .LBB4_11
.LBB4_18:                               ;   in Loop: Header=BB4_5 Depth=1
	s_or_b64 exec, exec, s[62:63]
	v_readlane_b32 s80, v32, 2
	s_and_b64 s[72:73], s[70:71], exec
	s_orn2_b64 s[70:71], s[68:69], exec
	s_and_b64 s[66:67], s[66:67], exec
	s_and_b64 s[62:63], s[64:65], exec
	s_orn2_b64 s[60:61], s[60:61], exec
	v_readlane_b32 s81, v32, 3
	v_readlane_b32 s82, v32, 4
	;; [unrolled: 1-line block ×5, first 2 shown]
.LBB4_19:                               ;   in Loop: Header=BB4_5 Depth=1
	s_or_b64 exec, exec, s[58:59]
	s_and_b64 s[68:69], s[72:73], exec
	s_orn2_b64 s[64:65], s[70:71], exec
	s_and_b64 s[66:67], s[66:67], exec
	s_and_b64 s[62:63], s[62:63], exec
	;; [unrolled: 1-line block ×3, first 2 shown]
.LBB4_20:                               ;   in Loop: Header=BB4_5 Depth=1
	s_or_b64 exec, exec, s[56:57]
	s_and_b64 s[68:69], s[68:69], exec
	s_and_b64 s[64:65], s[64:65], exec
	s_orn2_b64 s[56:57], s[66:67], exec
	s_and_b64 s[62:63], s[62:63], exec
	s_and_b64 s[60:61], s[58:59], exec
.LBB4_21:                               ;   in Loop: Header=BB4_5 Depth=1
	s_or_b64 exec, exec, s[54:55]
	s_and_b64 s[66:67], s[68:69], exec
	s_and_b64 s[64:65], s[64:65], exec
	s_and_b64 s[56:57], s[56:57], exec
	s_orn2_b64 s[58:59], s[62:63], exec
	s_and_b64 s[54:55], s[60:61], exec
.LBB4_22:                               ;   in Loop: Header=BB4_5 Depth=1
	s_or_b64 exec, exec, s[52:53]
	s_and_b64 s[62:63], s[66:67], exec
	s_and_b64 s[60:61], s[64:65], exec
	s_and_b64 s[56:57], s[56:57], exec
	s_and_b64 s[52:53], s[58:59], exec
	s_orn2_b64 s[54:55], s[54:55], exec
.LBB4_23:                               ;   in Loop: Header=BB4_5 Depth=1
	s_or_b64 exec, exec, s[12:13]
	s_andn2_b64 s[18:19], s[50:51], exec
	s_and_b64 s[58:59], s[62:63], exec
	s_or_b64 s[50:51], s[18:19], s[58:59]
	s_andn2_b64 s[18:19], s[46:47], exec
	s_or_b64 s[46:47], s[18:19], s[58:59]
	s_andn2_b64 s[18:19], s[48:49], exec
	s_and_b64 s[48:49], s[60:61], exec
	s_or_b64 s[48:49], s[18:19], s[48:49]
	s_andn2_b64 s[18:19], s[44:45], exec
	s_and_b64 s[44:45], s[56:57], exec
	;; [unrolled: 3-line block ×3, first 2 shown]
	s_mov_b64 s[12:13], -1
	s_or_b64 s[42:43], s[18:19], s[42:43]
	s_and_saveexec_b64 s[52:53], s[54:55]
	s_cbranch_execz .LBB4_4
; %bb.24:                               ;   in Loop: Header=BB4_5 Depth=1
	v_and_b32_e32 v16, 63, v25
	v_cmp_gt_u32_e32 vcc, 32, v16
	v_cndmask_b32_e64 v4, 0, 1, vcc
	v_lshlrev_b32_e32 v4, 5, v4
	v_add_lshl_u32 v8, v4, v25, 2
	ds_bpermute_b32 v4, v8, v2
	ds_bpermute_b32 v5, v8, v3
	v_cmp_gt_u32_e32 vcc, 48, v16
	v_cndmask_b32_e64 v12, 0, 1, vcc
	v_cmp_gt_u32_e32 vcc, 56, v16
	s_waitcnt lgkmcnt(0)
	v_add_f64 v[2:3], v[2:3], v[4:5]
	v_lshlrev_b32_e32 v4, 4, v12
	v_add_lshl_u32 v12, v4, v25, 2
	ds_bpermute_b32 v4, v12, v2
	ds_bpermute_b32 v5, v12, v3
	s_barrier
	s_waitcnt lgkmcnt(0)
	v_add_f64 v[2:3], v[2:3], v[4:5]
	v_cndmask_b32_e64 v4, 0, 1, vcc
	v_lshlrev_b32_e32 v4, 3, v4
	v_add_lshl_u32 v13, v4, v25, 2
	ds_bpermute_b32 v4, v13, v2
	ds_bpermute_b32 v5, v13, v3
	v_cmp_gt_u32_e32 vcc, 60, v16
	s_waitcnt lgkmcnt(0)
	v_add_f64 v[2:3], v[2:3], v[4:5]
	v_cndmask_b32_e64 v4, 0, 1, vcc
	v_lshlrev_b32_e32 v4, 2, v4
	v_add_lshl_u32 v14, v4, v25, 2
	ds_bpermute_b32 v4, v14, v2
	ds_bpermute_b32 v5, v14, v3
	v_cmp_gt_u32_e32 vcc, 62, v16
	s_waitcnt lgkmcnt(0)
	v_add_f64 v[2:3], v[2:3], v[4:5]
	v_cndmask_b32_e64 v4, 0, 1, vcc
	v_lshlrev_b32_e32 v4, 1, v4
	v_add_lshl_u32 v15, v4, v25, 2
	ds_bpermute_b32 v4, v15, v2
	ds_bpermute_b32 v5, v15, v3
	v_cmp_ne_u32_e32 vcc, 63, v16
	s_waitcnt lgkmcnt(0)
	v_add_f64 v[2:3], v[2:3], v[4:5]
	v_addc_co_u32_e32 v4, vcc, 0, v25, vcc
	v_lshlrev_b32_e32 v16, 2, v4
	ds_bpermute_b32 v4, v16, v2
	ds_bpermute_b32 v5, v16, v3
	s_and_saveexec_b64 s[12:13], s[2:3]
	s_cbranch_execz .LBB4_26
; %bb.25:                               ;   in Loop: Header=BB4_5 Depth=1
	s_waitcnt lgkmcnt(0)
	v_add_f64 v[2:3], v[2:3], v[4:5]
	ds_write_b64 v24, v[2:3]
.LBB4_26:                               ;   in Loop: Header=BB4_5 Depth=1
	s_or_b64 exec, exec, s[12:13]
	s_waitcnt lgkmcnt(0)
	s_barrier
	s_load_dword s17, s[26:27], 0xc
	s_load_dword s19, s[26:27], 0x0
	v_pk_mov_b32 v[2:3], 0, 0
	s_waitcnt lgkmcnt(0)
	s_bfe_u32 s12, s17, 0xa0006
	v_cmp_gt_u32_e32 vcc, s12, v0
	s_and_saveexec_b64 s[12:13], vcc
	s_cbranch_execz .LBB4_28
; %bb.27:                               ;   in Loop: Header=BB4_5 Depth=1
	ds_read_b64 v[2:3], v1
.LBB4_28:                               ;   in Loop: Header=BB4_5 Depth=1
	s_or_b64 exec, exec, s[12:13]
	s_and_saveexec_b64 s[12:13], s[4:5]
	s_cbranch_execz .LBB4_30
; %bb.29:                               ;   in Loop: Header=BB4_5 Depth=1
	s_waitcnt lgkmcnt(0)
	ds_bpermute_b32 v4, v8, v2
	ds_bpermute_b32 v5, v8, v3
	s_waitcnt lgkmcnt(0)
	v_add_f64 v[2:3], v[2:3], v[4:5]
	ds_bpermute_b32 v4, v12, v2
	ds_bpermute_b32 v5, v12, v3
	s_waitcnt lgkmcnt(0)
	v_add_f64 v[2:3], v[2:3], v[4:5]
	;; [unrolled: 4-line block ×6, first 2 shown]
.LBB4_30:                               ;   in Loop: Header=BB4_5 Depth=1
	s_or_b64 exec, exec, s[12:13]
	s_mov_b64 s[12:13], -1
	s_mov_b64 s[66:67], -1
                                        ; implicit-def: $sgpr56_sgpr57
                                        ; implicit-def: $sgpr58_sgpr59
                                        ; implicit-def: $sgpr54_sgpr55
                                        ; implicit-def: $sgpr62_sgpr63
                                        ; implicit-def: $sgpr60_sgpr61
	s_and_saveexec_b64 s[64:65], s[8:9]
	s_cbranch_execz .LBB4_36
; %bb.31:                               ;   in Loop: Header=BB4_5 Depth=1
	s_mov_b32 s30, 0
	s_mov_b32 s31, 0x7ff00000
	v_cmp_neq_f64_e64 s[30:31], |v[10:11]|, s[30:31]
	s_mov_b64 s[60:61], -1
	s_mov_b64 s[54:55], 0
	s_mov_b64 s[62:63], 0
	;; [unrolled: 1-line block ×3, first 2 shown]
	s_and_saveexec_b64 s[56:57], s[30:31]
	s_cbranch_execz .LBB4_35
; %bb.32:                               ;   in Loop: Header=BB4_5 Depth=1
	s_waitcnt lgkmcnt(0)
	v_cmp_lt_f64_e32 vcc, 0, v[2:3]
	s_mov_b64 s[58:59], 0
	s_and_saveexec_b64 s[60:61], vcc
	s_cbranch_execz .LBB4_34
; %bb.33:                               ;   in Loop: Header=BB4_5 Depth=1
	s_lshl_b64 s[30:31], s[6:7], 3
	s_add_u32 s30, s20, s30
	s_addc_u32 s31, s21, s31
	global_load_dwordx2 v[4:5], v9, s[30:31]
	s_mov_b64 s[58:59], exec
	ds_write_b32 v9, v9
	s_waitcnt vmcnt(0)
	ds_write2_b64 v26, v[2:3], v[4:5] offset1:1
.LBB4_34:                               ;   in Loop: Header=BB4_5 Depth=1
	s_or_b64 exec, exec, s[60:61]
	s_mov_b64 s[66:67], exec
	s_xor_b64 s[60:61], exec, -1
	s_and_b64 s[62:63], s[58:59], exec
.LBB4_35:                               ;   in Loop: Header=BB4_5 Depth=1
	s_or_b64 exec, exec, s[56:57]
	s_and_b64 s[58:59], s[66:67], exec
	s_and_b64 s[56:57], s[60:61], exec
	s_orn2_b64 s[66:67], s[62:63], exec
	s_mov_b64 s[62:63], 0
	s_mov_b64 s[60:61], 0
.LBB4_36:                               ;   in Loop: Header=BB4_5 Depth=1
	s_or_b64 exec, exec, s[64:65]
	s_and_saveexec_b64 s[64:65], s[66:67]
	s_cbranch_execz .LBB4_3
; %bb.37:                               ;   in Loop: Header=BB4_5 Depth=1
	s_waitcnt lgkmcnt(0)
	s_barrier
	ds_read2_b64 v[2:5], v26 offset1:1
	s_waitcnt lgkmcnt(0)
	s_barrier
	v_cmp_neq_f64_e32 vcc, 0, v[2:3]
	s_cbranch_vccz .LBB4_65
; %bb.38:                               ;   in Loop: Header=BB4_5 Depth=1
	s_and_b32 s70, s17, 0xffff
	v_cvt_f32_u32_e32 v8, s70
	s_sub_i32 s13, 0, s70
	s_add_i32 s12, s78, s70
	ds_write_b8 v9, v9 offset:4
	v_rcp_iflag_f32_e32 v8, v8
	v_mul_f32_e32 v8, 0x4f7ffffe, v8
	v_cvt_u32_f32_e32 v8, v8
	v_readfirstlane_b32 s17, v8
	s_mul_i32 s13, s13, s17
	s_mul_hi_u32 s13, s17, s13
	s_add_i32 s17, s17, s13
	s_mul_hi_u32 s13, s12, s17
	s_mul_i32 s17, s13, s70
	s_sub_i32 s12, s12, s17
	s_add_i32 s18, s13, 1
	s_sub_i32 s17, s12, s70
	s_cmp_ge_u32 s12, s70
	s_cselect_b32 s13, s18, s13
	s_cselect_b32 s12, s17, s12
	s_add_i32 s17, s13, 1
	s_cmp_ge_u32 s12, s70
	s_cselect_b32 s18, s17, s13
	s_cmp_lt_i32 s18, 1
	s_mov_b64 s[12:13], 0
	s_cbranch_scc1 .LBB4_58
; %bb.39:                               ;   in Loop: Header=BB4_5 Depth=1
	s_mul_i32 s12, s6, s16
	s_mul_hi_u32 s13, s6, s14
	s_add_i32 s12, s13, s12
	s_mul_i32 s13, s7, s14
	s_add_i32 s13, s12, s13
	s_mul_i32 s12, s6, s14
	s_lshl_b64 s[12:13], s[12:13], 3
	s_add_u32 s17, s22, s12
	s_addc_u32 s71, s23, s13
	s_cmp_gt_u32 s70, 1
	s_cselect_b64 s[66:67], -1, 0
	s_lshl_b32 s12, s70, 3
	s_add_i32 s72, s12, 8
	v_pk_mov_b32 v[12:13], 0, 0
	s_add_i32 s72, s72, -8
	s_mov_b32 s73, 0
	v_pk_mov_b32 v[14:15], v[12:13], v[12:13] op_sel:[0,1]
	s_branch .LBB4_42
.LBB4_40:                               ;   in Loop: Header=BB4_42 Depth=2
	s_or_b64 exec, exec, s[68:69]
	ds_write_b8 v9, v27 offset:4
.LBB4_41:                               ;   in Loop: Header=BB4_42 Depth=2
	s_or_b64 exec, exec, s[12:13]
	v_mov_b32_e32 v8, s72
	ds_read_b64 v[16:17], v8
	s_waitcnt lgkmcnt(0)
	s_barrier
	ds_read_u8 v8, v9 offset:4
	s_add_i32 s73, s73, 1
	s_cmp_ge_i32 s73, s18
	s_cselect_b64 s[30:31], -1, 0
	v_add_f64 v[14:15], v[14:15], v[16:17]
	s_waitcnt lgkmcnt(0)
	v_readfirstlane_b32 s12, v8
	s_bitcmp1_b32 s12, 0
	s_cselect_b64 s[12:13], -1, 0
	s_or_b64 s[30:31], s[30:31], s[12:13]
	s_and_b64 vcc, exec, s[30:31]
	s_cbranch_vccnz .LBB4_58
.LBB4_42:                               ;   Parent Loop BB4_5 Depth=1
                                        ; =>  This Loop Header: Depth=2
                                        ;       Child Loop BB4_47 Depth 3
                                        ;       Child Loop BB4_55 Depth 3
	s_mul_i32 s12, s73, s70
	v_add_u32_e32 v8, s12, v0
	v_cmp_gt_i32_e64 s[12:13], s33, v8
	v_pk_mov_b32 v[16:17], v[12:13], v[12:13] op_sel:[0,1]
	s_and_saveexec_b64 s[68:69], s[12:13]
	s_cbranch_execz .LBB4_44
; %bb.43:                               ;   in Loop: Header=BB4_42 Depth=2
	v_mul_lo_u32 v16, v8, s15
	v_ashrrev_i32_e32 v17, 31, v16
	v_lshlrev_b64 v[16:17], 3, v[16:17]
	v_mov_b32_e32 v18, s71
	v_add_co_u32_e32 v16, vcc, s17, v16
	v_addc_co_u32_e32 v17, vcc, v18, v17, vcc
	global_load_dwordx2 v[16:17], v[16:17], off
	s_waitcnt vmcnt(0)
	v_div_scale_f64 v[18:19], s[30:31], v[2:3], v[2:3], v[16:17]
	v_rcp_f64_e32 v[20:21], v[18:19]
	v_div_scale_f64 v[28:29], vcc, v[16:17], v[2:3], v[16:17]
	v_fma_f64 v[30:31], -v[18:19], v[20:21], 1.0
	v_fmac_f64_e32 v[20:21], v[20:21], v[30:31]
	v_fma_f64 v[30:31], -v[18:19], v[20:21], 1.0
	v_fmac_f64_e32 v[20:21], v[20:21], v[30:31]
	v_mul_f64 v[30:31], v[28:29], v[20:21]
	v_fma_f64 v[18:19], -v[18:19], v[30:31], v[28:29]
	v_div_fmas_f64 v[18:19], v[18:19], v[20:21], v[30:31]
	v_div_fixup_f64 v[16:17], v[18:19], v[2:3], v[16:17]
.LBB4_44:                               ;   in Loop: Header=BB4_42 Depth=2
	s_or_b64 exec, exec, s[68:69]
	s_andn2_b64 vcc, exec, s[66:67]
	ds_write_b64 v22, v[16:17]
	s_waitcnt lgkmcnt(0)
	s_barrier
	s_cbranch_vccnz .LBB4_51
; %bb.45:                               ;   in Loop: Header=BB4_42 Depth=2
	s_mov_b32 s74, 1
	s_branch .LBB4_47
.LBB4_46:                               ;   in Loop: Header=BB4_47 Depth=3
	s_or_b64 exec, exec, s[68:69]
	s_lshl_b32 s74, s74, 1
	s_cmp_ge_u32 s74, s70
	s_waitcnt lgkmcnt(0)
	s_barrier
	s_cbranch_scc1 .LBB4_51
.LBB4_47:                               ;   Parent Loop BB4_5 Depth=1
                                        ;     Parent Loop BB4_42 Depth=2
                                        ; =>    This Inner Loop Header: Depth=3
	v_cmp_le_u32_e32 vcc, s74, v0
	v_pk_mov_b32 v[18:19], 0, 0
	s_and_saveexec_b64 s[68:69], vcc
	s_cbranch_execz .LBB4_49
; %bb.48:                               ;   in Loop: Header=BB4_47 Depth=3
	v_subrev_u32_e32 v18, s74, v0
	v_lshl_add_u32 v18, v18, 3, 8
	ds_read_b64 v[18:19], v18
	ds_read_b64 v[20:21], v22
	s_waitcnt lgkmcnt(0)
	v_add_f64 v[18:19], v[18:19], v[20:21]
.LBB4_49:                               ;   in Loop: Header=BB4_47 Depth=3
	s_or_b64 exec, exec, s[68:69]
	s_barrier
	s_and_saveexec_b64 s[68:69], vcc
	s_cbranch_execz .LBB4_46
; %bb.50:                               ;   in Loop: Header=BB4_47 Depth=3
	ds_write_b64 v22, v[18:19]
	s_branch .LBB4_46
.LBB4_51:                               ;   in Loop: Header=BB4_42 Depth=2
	ds_read_b64 v[18:19], v22
	v_pk_mov_b32 v[20:21], v[14:15], v[14:15] op_sel:[0,1]
	s_and_saveexec_b64 s[68:69], s[10:11]
	s_cbranch_execz .LBB4_53
; %bb.52:                               ;   in Loop: Header=BB4_42 Depth=2
	ds_read_b64 v[20:21], v23
	s_waitcnt lgkmcnt(0)
	v_add_f64 v[20:21], v[14:15], v[20:21]
.LBB4_53:                               ;   in Loop: Header=BB4_42 Depth=2
	s_or_b64 exec, exec, s[68:69]
	s_waitcnt lgkmcnt(0)
	v_add_f64 v[18:19], v[14:15], v[18:19]
	v_cmp_nge_f64_e32 vcc, v[4:5], v[18:19]
	s_and_b64 s[12:13], s[12:13], vcc
	v_cmp_ge_f64_e32 vcc, v[4:5], v[20:21]
	s_and_b64 s[12:13], s[12:13], vcc
	v_cmp_lt_f64_e32 vcc, 0, v[16:17]
	s_and_b64 s[30:31], s[12:13], vcc
	s_and_saveexec_b64 s[12:13], s[30:31]
	s_cbranch_execz .LBB4_41
; %bb.54:                               ;   in Loop: Header=BB4_42 Depth=2
	s_mov_b64 s[68:69], exec
	s_mov_b32 s74, 0
.LBB4_55:                               ;   Parent Loop BB4_5 Depth=1
                                        ;     Parent Loop BB4_42 Depth=2
                                        ; =>    This Inner Loop Header: Depth=3
	s_ff1_i32_b64 s30, s[68:69]
	v_readlane_b32 s75, v8, s30
	s_lshl_b64 s[30:31], 1, s30
	s_max_u32 s74, s74, s75
	s_andn2_b64 s[68:69], s[68:69], s[30:31]
	s_cmp_lg_u64 s[68:69], 0
	s_cbranch_scc1 .LBB4_55
; %bb.56:                               ;   in Loop: Header=BB4_42 Depth=2
	v_mbcnt_lo_u32_b32 v8, exec_lo, 0
	v_mbcnt_hi_u32_b32 v8, exec_hi, v8
	v_cmp_eq_u32_e32 vcc, 0, v8
	s_and_saveexec_b64 s[30:31], vcc
	s_xor_b64 s[68:69], exec, s[30:31]
	s_cbranch_execz .LBB4_40
; %bb.57:                               ;   in Loop: Header=BB4_42 Depth=2
	v_mov_b32_e32 v8, s74
	ds_max_u32 v9, v8
	s_branch .LBB4_40
.LBB4_58:                               ;   in Loop: Header=BB4_5 Depth=1
	s_xor_b64 s[70:71], s[12:13], -1
	s_mov_b64 s[12:13], 0
	s_mov_b64 s[68:69], 0
	s_and_saveexec_b64 s[66:67], s[8:9]
	s_cbranch_execz .LBB4_69
; %bb.59:                               ;   in Loop: Header=BB4_5 Depth=1
	s_and_b64 vcc, exec, s[70:71]
	s_cbranch_vccz .LBB4_66
; %bb.60:                               ;   in Loop: Header=BB4_5 Depth=1
	s_mul_i32 s17, s6, s16
	s_mul_hi_u32 s18, s6, s14
	s_add_i32 s17, s18, s17
	s_mul_i32 s18, s7, s14
	s_add_i32 s31, s17, s18
	s_mul_i32 s30, s6, s14
	s_lshl_b64 s[30:31], s[30:31], 3
	s_add_u32 s18, s22, s30
	s_addc_u32 s74, s23, s31
	s_mov_b32 s68, s79
	s_mov_b32 s17, s33
	s_branch .LBB4_62
.LBB4_61:                               ;   in Loop: Header=BB4_62 Depth=2
	s_ashr_i32 s69, s68, 31
	s_add_i32 s17, s17, -1
	s_lshl_b64 s[30:31], s[68:69], 3
	s_add_u32 s30, s18, s30
	s_addc_u32 s31, s74, s31
	global_load_dwordx2 v[2:3], v9, s[30:31]
	s_sub_i32 s68, s68, s15
	s_mov_b64 s[70:71], 0
	s_waitcnt vmcnt(0)
	v_cmp_lt_f64_e64 s[72:73], 0, v[2:3]
	s_andn2_b64 vcc, exec, s[72:73]
	s_cbranch_vccz .LBB4_64
.LBB4_62:                               ;   Parent Loop BB4_5 Depth=1
                                        ; =>  This Inner Loop Header: Depth=2
	s_cmp_lt_i32 s17, 1
	s_cbranch_scc0 .LBB4_61
; %bb.63:                               ;   in Loop: Header=BB4_5 Depth=1
	s_mov_b64 s[70:71], -1
                                        ; implicit-def: $sgpr68
                                        ; implicit-def: $sgpr17
.LBB4_64:                               ;   in Loop: Header=BB4_5 Depth=1
	s_xor_b64 s[68:69], s[70:71], -1
	v_mov_b32_e32 v8, s17
	s_branch .LBB4_68
.LBB4_65:                               ;   in Loop: Header=BB4_5 Depth=1
	s_mov_b64 s[68:69], 0
	s_and_b64 vcc, exec, s[12:13]
	s_cbranch_vccnz .LBB4_70
	s_branch .LBB4_71
.LBB4_66:                               ;   in Loop: Header=BB4_5 Depth=1
                                        ; implicit-def: $sgpr17
	v_mov_b32_e32 v8, s17
	s_cbranch_execz .LBB4_68
; %bb.67:                               ;   in Loop: Header=BB4_5 Depth=1
	ds_read_b32 v8, v9
	s_mov_b64 s[68:69], -1
.LBB4_68:                               ;   in Loop: Header=BB4_5 Depth=1
	s_and_b64 s[68:69], s[68:69], exec
.LBB4_69:                               ;   in Loop: Header=BB4_5 Depth=1
	s_or_b64 exec, exec, s[66:67]
	s_and_b64 vcc, exec, s[12:13]
	s_cbranch_vccz .LBB4_71
.LBB4_70:                               ;   in Loop: Header=BB4_5 Depth=1
	s_andn2_b64 s[12:13], s[68:69], exec
	s_and_b64 s[30:31], s[8:9], exec
	s_waitcnt lgkmcnt(0)
	v_mov_b32_e32 v8, 0
	s_or_b64 s[68:69], s[12:13], s[30:31]
.LBB4_71:                               ;   in Loop: Header=BB4_5 Depth=1
	s_and_saveexec_b64 s[12:13], s[68:69]
	s_cbranch_execz .LBB4_2
; %bb.72:                               ;   in Loop: Header=BB4_5 Depth=1
	s_lshl_b64 s[30:31], s[6:7], 3
	s_add_u32 s30, s80, s30
	s_addc_u32 s31, s81, s31
	s_waitcnt lgkmcnt(0)
	global_store_dwordx2 v9, v[8:9], s[30:31]
	s_branch .LBB4_2
.LBB4_73:
	s_or_b64 exec, exec, s[28:29]
	s_xor_b64 s[6:7], s[40:41], -1
	s_xor_b64 s[10:11], s[38:39], -1
	;; [unrolled: 1-line block ×4, first 2 shown]
	s_mov_b64 s[2:3], 0
	s_and_saveexec_b64 s[4:5], s[0:1]
	s_xor_b64 s[0:1], exec, s[4:5]
	s_cbranch_execz .LBB4_85
; %bb.74:
	s_mov_b64 s[4:5], 0
	s_and_saveexec_b64 s[2:3], s[8:9]
	s_xor_b64 s[2:3], exec, s[2:3]
	s_cbranch_execz .LBB4_83
; %bb.75:
	;; [unrolled: 5-line block ×3, first 2 shown]
	s_and_saveexec_b64 s[10:11], s[6:7]
	s_xor_b64 s[6:7], exec, s[10:11]
	s_cbranch_execz .LBB4_79
; %bb.77:
	s_and_saveexec_b64 s[10:11], s[24:25]
	s_xor_b64 s[10:11], exec, s[10:11]
	s_cbranch_execnz .LBB4_93
.LBB4_78:
	s_or_b64 exec, exec, s[10:11]
	s_and_b64 s[8:9], s[8:9], exec
.LBB4_79:
	s_andn2_saveexec_b64 s[6:7], s[6:7]
	s_cbranch_execnz .LBB4_92
.LBB4_80:
	s_or_b64 exec, exec, s[6:7]
	s_and_b64 s[8:9], s[8:9], exec
.LBB4_81:
	s_andn2_saveexec_b64 s[4:5], s[4:5]
	s_cbranch_execnz .LBB4_91
.LBB4_82:
	s_or_b64 exec, exec, s[4:5]
	s_and_b64 s[4:5], s[8:9], exec
.LBB4_83:
	s_andn2_saveexec_b64 s[2:3], s[2:3]
	s_cbranch_execnz .LBB4_90
.LBB4_84:
	s_or_b64 exec, exec, s[2:3]
	s_and_b64 s[2:3], s[4:5], exec
.LBB4_85:
	s_andn2_saveexec_b64 s[0:1], s[0:1]
	s_cbranch_execnz .LBB4_89
; %bb.86:
	s_or_b64 exec, exec, s[0:1]
	s_and_saveexec_b64 s[0:1], s[2:3]
.LBB4_87:
	; divergent unreachable
.LBB4_88:
	s_endpgm
.LBB4_89:
	s_or_b64 s[2:3], s[2:3], exec
	s_trap 2
	s_or_b64 exec, exec, s[0:1]
	s_and_saveexec_b64 s[0:1], s[2:3]
	s_cbranch_execnz .LBB4_87
	s_branch .LBB4_88
.LBB4_90:
	s_or_b64 s[4:5], s[4:5], exec
	s_trap 2
	s_branch .LBB4_84
.LBB4_91:
	s_or_b64 s[8:9], s[8:9], exec
	s_trap 2
	s_branch .LBB4_82
.LBB4_92:
	s_or_b64 s[8:9], s[8:9], exec
	s_trap 2
	s_branch .LBB4_80
.LBB4_93:
	s_mov_b64 s[8:9], exec
	s_trap 2
	s_branch .LBB4_78
	.section	.rodata,"a",@progbits
	.p2align	6, 0x0
	.amdhsa_kernel _ZN2at6native12_GLOBAL__N_121sampleMultinomialOnceIddEEvPlliPKT_S6_ii
		.amdhsa_group_segment_fixed_size 8
		.amdhsa_private_segment_fixed_size 0
		.amdhsa_kernarg_size 304
		.amdhsa_user_sgpr_count 6
		.amdhsa_user_sgpr_private_segment_buffer 1
		.amdhsa_user_sgpr_dispatch_ptr 0
		.amdhsa_user_sgpr_queue_ptr 0
		.amdhsa_user_sgpr_kernarg_segment_ptr 1
		.amdhsa_user_sgpr_dispatch_id 0
		.amdhsa_user_sgpr_flat_scratch_init 0
		.amdhsa_user_sgpr_kernarg_preload_length 0
		.amdhsa_user_sgpr_kernarg_preload_offset 0
		.amdhsa_user_sgpr_private_segment_size 0
		.amdhsa_uses_dynamic_stack 0
		.amdhsa_system_sgpr_private_segment_wavefront_offset 0
		.amdhsa_system_sgpr_workgroup_id_x 1
		.amdhsa_system_sgpr_workgroup_id_y 0
		.amdhsa_system_sgpr_workgroup_id_z 0
		.amdhsa_system_sgpr_workgroup_info 0
		.amdhsa_system_vgpr_workitem_id 0
		.amdhsa_next_free_vgpr 33
		.amdhsa_next_free_sgpr 96
		.amdhsa_accum_offset 36
		.amdhsa_reserve_vcc 1
		.amdhsa_reserve_flat_scratch 0
		.amdhsa_float_round_mode_32 0
		.amdhsa_float_round_mode_16_64 0
		.amdhsa_float_denorm_mode_32 3
		.amdhsa_float_denorm_mode_16_64 3
		.amdhsa_dx10_clamp 1
		.amdhsa_ieee_mode 1
		.amdhsa_fp16_overflow 0
		.amdhsa_tg_split 0
		.amdhsa_exception_fp_ieee_invalid_op 0
		.amdhsa_exception_fp_denorm_src 0
		.amdhsa_exception_fp_ieee_div_zero 0
		.amdhsa_exception_fp_ieee_overflow 0
		.amdhsa_exception_fp_ieee_underflow 0
		.amdhsa_exception_fp_ieee_inexact 0
		.amdhsa_exception_int_div_zero 0
	.end_amdhsa_kernel
	.section	.text._ZN2at6native12_GLOBAL__N_121sampleMultinomialOnceIddEEvPlliPKT_S6_ii,"axG",@progbits,_ZN2at6native12_GLOBAL__N_121sampleMultinomialOnceIddEEvPlliPKT_S6_ii,comdat
.Lfunc_end4:
	.size	_ZN2at6native12_GLOBAL__N_121sampleMultinomialOnceIddEEvPlliPKT_S6_ii, .Lfunc_end4-_ZN2at6native12_GLOBAL__N_121sampleMultinomialOnceIddEEvPlliPKT_S6_ii
                                        ; -- End function
	.section	.AMDGPU.csdata,"",@progbits
; Kernel info:
; codeLenInByte = 3372
; NumSgprs: 100
; NumVgprs: 33
; NumAgprs: 0
; TotalNumVgprs: 33
; ScratchSize: 0
; MemoryBound: 0
; FloatMode: 240
; IeeeMode: 1
; LDSByteSize: 8 bytes/workgroup (compile time only)
; SGPRBlocks: 12
; VGPRBlocks: 4
; NumSGPRsForWavesPerEU: 100
; NumVGPRsForWavesPerEU: 33
; AccumOffset: 36
; Occupancy: 8
; WaveLimiterHint : 0
; COMPUTE_PGM_RSRC2:SCRATCH_EN: 0
; COMPUTE_PGM_RSRC2:USER_SGPR: 6
; COMPUTE_PGM_RSRC2:TRAP_HANDLER: 0
; COMPUTE_PGM_RSRC2:TGID_X_EN: 1
; COMPUTE_PGM_RSRC2:TGID_Y_EN: 0
; COMPUTE_PGM_RSRC2:TGID_Z_EN: 0
; COMPUTE_PGM_RSRC2:TIDIG_COMP_CNT: 0
; COMPUTE_PGM_RSRC3_GFX90A:ACCUM_OFFSET: 8
; COMPUTE_PGM_RSRC3_GFX90A:TG_SPLIT: 0
	.section	.text._ZN2at6native12_GLOBAL__N_132sampleMultinomialWithReplacementIdEEvNS_15PhiloxCudaStateEiPlliPKT_S7_,"axG",@progbits,_ZN2at6native12_GLOBAL__N_132sampleMultinomialWithReplacementIdEEvNS_15PhiloxCudaStateEiPlliPKT_S7_,comdat
	.globl	_ZN2at6native12_GLOBAL__N_132sampleMultinomialWithReplacementIdEEvNS_15PhiloxCudaStateEiPlliPKT_S7_ ; -- Begin function _ZN2at6native12_GLOBAL__N_132sampleMultinomialWithReplacementIdEEvNS_15PhiloxCudaStateEiPlliPKT_S7_
	.p2align	8
	.type	_ZN2at6native12_GLOBAL__N_132sampleMultinomialWithReplacementIdEEvNS_15PhiloxCudaStateEiPlliPKT_S7_,@function
_ZN2at6native12_GLOBAL__N_132sampleMultinomialWithReplacementIdEEvNS_15PhiloxCudaStateEiPlliPKT_S7_: ; @_ZN2at6native12_GLOBAL__N_132sampleMultinomialWithReplacementIdEEvNS_15PhiloxCudaStateEiPlliPKT_S7_
; %bb.0:
	s_mov_b32 s16, s7
	s_load_dword s7, s[4:5], 0x18
	s_load_dwordx4 s[0:3], s[4:5], 0x0
	s_mov_b32 s17, 0
	s_waitcnt lgkmcnt(0)
	s_bitcmp0_b32 s7, 0
	v_pk_mov_b32 v[6:7], s[2:3], s[2:3] op_sel:[0,1]
	v_pk_mov_b32 v[2:3], s[0:1], s[0:1] op_sel:[0,1]
	s_cbranch_scc1 .LBB5_2
; %bb.1:
	v_pk_mov_b32 v[2:3], s[2:3], s[2:3] op_sel:[0,1]
	flat_load_dwordx2 v[4:5], v[2:3]
	v_pk_mov_b32 v[2:3], s[0:1], s[0:1] op_sel:[0,1]
	flat_load_dwordx2 v[2:3], v[2:3]
	s_load_dwordx2 s[0:1], s[4:5], 0x10
	s_waitcnt lgkmcnt(0)
	v_mov_b32_e32 v1, s1
	s_waitcnt vmcnt(0)
	v_add_co_u32_e32 v6, vcc, s0, v4
	v_addc_co_u32_e32 v7, vcc, v5, v1, vcc
.LBB5_2:
	s_load_dwordx4 s[8:11], s[4:5], 0x28
	s_waitcnt lgkmcnt(0)
	v_pk_mov_b32 v[4:5], s[10:11], s[10:11] op_sel:[0,1]
	v_cmp_ge_i64_e32 vcc, s[16:17], v[4:5]
	s_cbranch_vccnz .LBB5_36
; %bb.3:
	v_mov_b32_e32 v4, v3
	s_mov_b32 s0, 0xdb3d7428
	v_add_co_u32_e32 v15, vcc, s0, v4
	s_mov_b32 s0, 0x5384540f
	v_add_co_u32_e32 v16, vcc, s0, v2
	;; [unrolled: 2-line block ×6, first 2 shown]
	s_mov_b32 s0, 0x76cf5d0a
	s_load_dword s33, s[4:5], 0x20
	s_load_dword s18, s[4:5], 0x38
	v_add_co_u32_e32 v21, vcc, s0, v4
	s_mov_b32 s0, 0x9e3779b9
	v_alignbit_b32 v23, v7, v6, 2
	s_mov_b32 s44, 0xd2511f53
	s_load_dwordx4 s[12:15], s[4:5], 0x40
	s_load_dword s48, s[4:5], 0x50
	v_add_co_u32_e32 v22, vcc, s0, v2
	v_mad_u64_u32 v[8:9], s[0:1], v23, s44, 0
	s_load_dword s0, s[4:5], 0x5c
	s_waitcnt lgkmcnt(0)
	s_ashr_i32 s19, s18, 31
	s_add_u32 s4, s4, 0x50
	s_mul_i32 s1, s48, s16
	s_addc_u32 s5, s5, 0
	s_add_i32 s1, s1, s6
	s_and_b32 s2, s0, 0xffff
	s_mul_i32 s1, s1, s2
	v_add_u32_e32 v24, s1, v0
	v_xor_b32_e32 v5, v9, v3
	v_ashrrev_i32_e32 v25, 31, v24
	v_xor_b32_e32 v5, v5, v25
	s_mov_b32 s45, 0xcd9e8d57
	v_mad_u64_u32 v[10:11], s[0:1], v5, s45, 0
	v_xor_b32_e32 v5, v22, v11
	v_mad_u64_u32 v[26:27], s[0:1], v24, s45, 0
	v_and_b32_e32 v12, 3, v6
	v_xor_b32_e32 v5, v5, v26
	v_xor_b32_e32 v6, v2, v27
	v_lshrrev_b32_e32 v27, 2, v7
	v_mad_u64_u32 v[30:31], s[0:1], v5, s44, 0
	v_xor_b32_e32 v6, v6, v27
	v_xor_b32_e32 v5, v21, v31
	v_mad_u64_u32 v[6:7], s[0:1], v6, s44, 0
	v_xor_b32_e32 v5, v5, v6
	v_mad_u64_u32 v[32:33], s[0:1], v5, s45, 0
	s_mov_b32 s0, 0xbb67ae85
	v_add_co_u32_e32 v26, vcc, s0, v4
	v_xor_b32_e32 v6, v26, v7
	v_xor_b32_e32 v6, v6, v8
	v_xor_b32_e32 v5, v20, v33
	v_mad_u64_u32 v[6:7], s[0:1], v6, s45, 0
	v_xor_b32_e32 v5, v5, v6
	v_mad_u64_u32 v[8:9], s[0:1], v5, s44, 0
	s_mov_b32 s0, 0x3c6ef372
	v_add_co_u32_e32 v28, vcc, s0, v2
	v_xor_b32_e32 v6, v28, v7
	;; [unrolled: 8-line block ×7, first 2 shown]
	v_xor_b32_e32 v4, v4, v34
	v_mad_u64_u32 v[4:5], s[0:1], v4, s45, 0
	s_mov_b32 s0, 0xf1bbcdc8
	v_add_u32_e32 v13, 0x8ff34781, v2
	v_xor_b32_e32 v4, v7, v4
	v_add_co_u32_e32 v34, vcc, s0, v2
	v_xor_b32_e32 v7, v13, v4
	v_xor_b32_e32 v4, v34, v5
	v_xor_b32_e32 v4, v4, v36
	v_mad_u64_u32 v[4:5], s[0:1], v4, s44, 0
	s_mul_i32 s6, s6, s2
	v_add_u32_e32 v14, 0x96a522ad, v3
	v_xor_b32_e32 v5, v5, v8
	v_add_u32_e32 v35, s6, v0
	v_mov_b32_e32 v1, 0
	s_mov_b64 s[20:21], 0
	v_cmp_gt_i64_e64 s[22:23], s[18:19], 0
	v_xor_b32_e32 v5, v14, v5
	v_cmp_gt_i32_e64 s[0:1], s33, v35
	s_add_i32 s46, s18, -1
	s_ashr_i32 s47, s33, 31
	s_mul_i32 s48, s48, s2
	s_lshl_b64 s[6:7], s[18:19], 3
                                        ; implicit-def: $sgpr24_sgpr25
                                        ; implicit-def: $sgpr26_sgpr27
	s_branch .LBB5_5
.LBB5_4:                                ;   in Loop: Header=BB5_5 Depth=1
	s_or_b64 exec, exec, s[30:31]
	s_and_b64 s[2:3], exec, s[28:29]
	s_or_b64 s[20:21], s[2:3], s[20:21]
	s_andn2_b64 s[2:3], s[24:25], exec
	s_and_b64 s[24:25], s[26:27], exec
	s_or_b64 s[24:25], s[2:3], s[24:25]
	s_andn2_b64 exec, exec, s[20:21]
	s_cbranch_execz .LBB5_35
.LBB5_5:                                ; =>This Loop Header: Depth=1
                                        ;     Child Loop BB5_9 Depth 2
                                        ;       Child Loop BB5_22 Depth 3
                                        ;       Child Loop BB5_28 Depth 3
	s_mov_b64 s[2:3], -1
                                        ; implicit-def: $sgpr34_sgpr35
	s_and_saveexec_b64 s[28:29], s[0:1]
	s_cbranch_execz .LBB5_33
; %bb.6:                                ;   in Loop: Header=BB5_5 Depth=1
	s_mul_i32 s2, s16, s19
	s_mul_hi_u32 s3, s16, s18
	s_add_i32 s2, s3, s2
	s_mul_i32 s3, s17, s18
	s_add_i32 s3, s2, s3
	s_mul_i32 s2, s16, s18
	s_lshl_b64 s[2:3], s[2:3], 3
	s_add_u32 s49, s12, s2
	s_addc_u32 s50, s13, s3
	s_add_u32 s51, s49, s6
	s_mul_i32 s2, s16, s47
	s_mul_hi_u32 s3, s16, s33
	s_addc_u32 s52, s50, s7
	s_add_i32 s2, s3, s2
	s_mul_i32 s3, s17, s33
	s_add_i32 s3, s2, s3
	s_mul_i32 s2, s16, s33
	s_lshl_b64 s[2:3], s[2:3], 3
	s_add_u32 s53, s8, s2
	s_addc_u32 s54, s9, s3
	s_mul_i32 s2, s6, s17
	s_mul_hi_u32 s3, s6, s16
	s_add_i32 s2, s3, s2
	s_mul_i32 s3, s7, s16
	s_add_i32 s2, s2, s3
	s_mul_i32 s3, s6, s16
	s_add_u32 s55, s14, s3
	s_addc_u32 s56, s15, s2
	s_mov_b64 s[34:35], 0
	v_mov_b32_e32 v8, v35
                                        ; implicit-def: $sgpr30_sgpr31
                                        ; implicit-def: $sgpr36_sgpr37
	s_branch .LBB5_9
.LBB5_7:                                ;   in Loop: Header=BB5_9 Depth=2
	s_mov_b64 s[2:3], -1
	s_mov_b64 s[38:39], -1
                                        ; implicit-def: $vgpr8
                                        ; implicit-def: $vgpr7
                                        ; implicit-def: $vgpr6
                                        ; implicit-def: $vgpr5
                                        ; implicit-def: $vgpr4
                                        ; implicit-def: $vgpr23
                                        ; implicit-def: $vgpr27
                                        ; implicit-def: $vgpr24
                                        ; implicit-def: $vgpr25
.LBB5_8:                                ;   in Loop: Header=BB5_9 Depth=2
	s_xor_b64 s[38:39], s[38:39], -1
	s_and_b64 s[40:41], exec, s[2:3]
	s_or_b64 s[34:35], s[40:41], s[34:35]
	s_andn2_b64 s[36:37], s[36:37], exec
	s_and_b64 s[2:3], s[2:3], exec
	s_or_b64 s[36:37], s[36:37], s[2:3]
	s_andn2_b64 s[2:3], s[30:31], exec
	s_and_b64 s[30:31], s[38:39], exec
	s_or_b64 s[30:31], s[2:3], s[30:31]
	s_andn2_b64 exec, exec, s[34:35]
	s_cbranch_execz .LBB5_32
.LBB5_9:                                ;   Parent Loop BB5_5 Depth=1
                                        ; =>  This Loop Header: Depth=2
                                        ;       Child Loop BB5_22 Depth 3
                                        ;       Child Loop BB5_28 Depth 3
	v_add_co_u32_e32 v23, vcc, 1, v23
	v_cndmask_b32_e64 v0, 0, 1, vcc
	v_addc_co_u32_e32 v27, vcc, 0, v27, vcc
	v_cmp_eq_u32_e32 vcc, 0, v27
	v_cndmask_b32_e32 v9, 0, v0, vcc
	v_add_u32_e32 v24, v9, v24
	v_cmp_eq_u32_e64 s[2:3], 0, v24
	v_cmp_lt_i32_e32 vcc, 1, v12
	s_and_saveexec_b64 s[38:39], vcc
	s_xor_b64 s[38:39], exec, s[38:39]
	s_cbranch_execz .LBB5_15
; %bb.10:                               ;   in Loop: Header=BB5_9 Depth=2
	v_cmp_lt_i32_e32 vcc, 2, v12
	s_and_saveexec_b64 s[40:41], vcc
	s_xor_b64 s[40:41], exec, s[40:41]
; %bb.11:                               ;   in Loop: Header=BB5_9 Depth=2
                                        ; implicit-def: $vgpr5
; %bb.12:                               ;   in Loop: Header=BB5_9 Depth=2
	s_andn2_saveexec_b64 s[40:41], s[40:41]
; %bb.13:                               ;   in Loop: Header=BB5_9 Depth=2
	v_mov_b32_e32 v4, v5
; %bb.14:                               ;   in Loop: Header=BB5_9 Depth=2
	s_or_b64 exec, exec, s[40:41]
                                        ; implicit-def: $vgpr7
                                        ; implicit-def: $vgpr6
.LBB5_15:                               ;   in Loop: Header=BB5_9 Depth=2
	s_andn2_saveexec_b64 s[38:39], s[38:39]
	s_cbranch_execz .LBB5_19
; %bb.16:                               ;   in Loop: Header=BB5_9 Depth=2
	v_cmp_eq_u32_e32 vcc, 1, v12
	s_and_saveexec_b64 s[40:41], vcc
; %bb.17:                               ;   in Loop: Header=BB5_9 Depth=2
	v_mov_b32_e32 v7, v6
; %bb.18:                               ;   in Loop: Header=BB5_9 Depth=2
	s_or_b64 exec, exec, s[40:41]
	v_mov_b32_e32 v4, v7
.LBB5_19:                               ;   in Loop: Header=BB5_9 Depth=2
	s_or_b64 exec, exec, s[38:39]
	s_add_u32 s38, s51, -8
	s_addc_u32 s39, s52, -1
	s_load_dwordx2 s[38:39], s[38:39], 0x0
	s_waitcnt lgkmcnt(0)
	v_cmp_ngt_f64_e64 s[38:39], s[38:39], 0
	s_and_b64 vcc, exec, s[38:39]
	s_cbranch_vccnz .LBB5_7
; %bb.20:                               ;   in Loop: Header=BB5_9 Depth=2
	s_andn2_b64 vcc, exec, s[22:23]
	s_cbranch_vccnz .LBB5_24
; %bb.21:                               ;   in Loop: Header=BB5_9 Depth=2
	v_cvt_f32_u32_e32 v4, v4
	v_mov_b32_e32 v5, 0x2f800000
	s_mov_b64 s[38:39], 0
	v_mov_b32_e32 v0, s18
	v_fmac_f32_e32 v5, 0x2f800000, v4
	v_cvt_f64_f32_e32 v[4:5], v5
	v_mov_b32_e32 v10, 0
	v_mov_b32_e32 v6, s18
.LBB5_22:                               ;   Parent Loop BB5_5 Depth=1
                                        ;     Parent Loop BB5_9 Depth=2
                                        ; =>    This Inner Loop Header: Depth=3
	v_lshrrev_b32_e32 v0, 1, v0
	v_add_u32_e32 v0, v0, v10
	v_lshlrev_b64 v[36:37], 3, v[0:1]
	v_mov_b32_e32 v7, s50
	v_add_co_u32_e32 v36, vcc, s49, v36
	v_addc_co_u32_e32 v37, vcc, v7, v37, vcc
	global_load_dwordx2 v[36:37], v[36:37], off
	v_add_u32_e32 v7, 1, v0
	s_waitcnt vmcnt(0)
	v_cmp_lt_f64_e32 vcc, v[36:37], v[4:5]
	v_cndmask_b32_e32 v6, v0, v6, vcc
	v_cndmask_b32_e32 v10, v10, v7, vcc
	v_sub_u32_e32 v0, v6, v10
	v_cmp_gt_i32_e32 vcc, 1, v0
	s_or_b64 s[38:39], vcc, s[38:39]
	s_andn2_b64 exec, exec, s[38:39]
	s_cbranch_execnz .LBB5_22
; %bb.23:                               ;   in Loop: Header=BB5_9 Depth=2
	s_or_b64 exec, exec, s[38:39]
	s_branch .LBB5_25
.LBB5_24:                               ;   in Loop: Header=BB5_9 Depth=2
	v_mov_b32_e32 v10, 0
.LBB5_25:                               ;   in Loop: Header=BB5_9 Depth=2
	v_cndmask_b32_e64 v0, 0, v9, s[2:3]
	v_mad_u64_u32 v[4:5], s[2:3], v23, s44, 0
	v_add_u32_e32 v25, v0, v25
	v_mad_u64_u32 v[6:7], s[2:3], v24, s45, 0
	v_xor_b32_e32 v5, v5, v3
	v_xor_b32_e32 v0, v7, v2
	v_xor_b32_e32 v5, v25, v5
	v_xor_b32_e32 v0, v27, v0
	v_mad_u64_u32 v[38:39], s[2:3], v5, s45, 0
	v_mad_u64_u32 v[36:37], s[2:3], v0, s44, 0
	v_xor_b32_e32 v0, v22, v39
	v_xor_b32_e32 v0, v0, v6
	v_xor_b32_e32 v5, v26, v37
	v_xor_b32_e32 v6, v5, v4
	v_mad_u64_u32 v[4:5], s[2:3], v0, s44, 0
	;; [unrolled: 6-line block ×9, first 2 shown]
	v_mad_u64_u32 v[4:5], s[2:3], v0, s44, 0
	v_xor_b32_e32 v0, v7, v42
	v_xor_b32_e32 v7, v13, v0
	;; [unrolled: 1-line block ×4, first 2 shown]
	v_mov_b32_e32 v0, s46
	v_cmp_eq_u32_e32 vcc, s18, v10
	v_cndmask_b32_e32 v0, v10, v0, vcc
	v_cmp_lt_i32_e32 vcc, 0, v0
	s_and_saveexec_b64 s[2:3], vcc
	s_cbranch_execz .LBB5_31
; %bb.26:                               ;   in Loop: Header=BB5_9 Depth=2
	v_lshlrev_b64 v[10:11], 3, v[0:1]
	v_mov_b32_e32 v9, s56
	v_add_co_u32_e32 v10, vcc, s55, v10
	v_addc_co_u32_e32 v11, vcc, v9, v11, vcc
	s_mov_b64 s[38:39], 0
                                        ; implicit-def: $sgpr40_sgpr41
	s_branch .LBB5_28
.LBB5_27:                               ;   in Loop: Header=BB5_28 Depth=3
	s_or_b64 exec, exec, s[42:43]
	s_and_b64 s[42:43], exec, s[40:41]
	v_mov_b32_e32 v36, v0
	s_or_b64 s[38:39], s[42:43], s[38:39]
	v_mov_b32_e32 v0, v9
	s_andn2_b64 exec, exec, s[38:39]
	s_cbranch_execz .LBB5_30
.LBB5_28:                               ;   Parent Loop BB5_5 Depth=1
                                        ;     Parent Loop BB5_9 Depth=2
                                        ; =>    This Inner Loop Header: Depth=3
	global_load_dwordx2 v[36:37], v[10:11], off
	s_or_b64 s[40:41], s[40:41], exec
                                        ; implicit-def: $vgpr9
	s_waitcnt vmcnt(0)
	v_cmp_eq_f64_e32 vcc, 0, v[36:37]
	s_and_saveexec_b64 s[42:43], vcc
	s_cbranch_execz .LBB5_27
; %bb.29:                               ;   in Loop: Header=BB5_28 Depth=3
	v_add_co_u32_e32 v10, vcc, -8, v10
	v_addc_co_u32_e32 v11, vcc, -1, v11, vcc
	v_cmp_gt_u32_e32 vcc, 2, v0
	s_andn2_b64 s[40:41], s[40:41], exec
	s_and_b64 s[58:59], vcc, exec
	v_add_u32_e32 v9, -1, v0
	v_mov_b32_e32 v0, 0
	s_or_b64 s[40:41], s[40:41], s[58:59]
	s_branch .LBB5_27
.LBB5_30:                               ;   in Loop: Header=BB5_9 Depth=2
	s_or_b64 exec, exec, s[38:39]
	v_mov_b32_e32 v0, v36
.LBB5_31:                               ;   in Loop: Header=BB5_9 Depth=2
	s_or_b64 exec, exec, s[2:3]
	v_ashrrev_i32_e32 v9, 31, v8
	v_lshlrev_b64 v[36:37], 3, v[8:9]
	v_ashrrev_i32_e32 v11, 31, v0
	v_mov_b32_e32 v10, v0
	v_mov_b32_e32 v0, s54
	v_add_co_u32_e32 v36, vcc, s53, v36
	v_addc_co_u32_e32 v37, vcc, v0, v37, vcc
	v_add_u32_e32 v8, s48, v8
	global_store_dwordx2 v[36:37], v[10:11], off
	v_cmp_le_i32_e64 s[2:3], s33, v8
	s_mov_b64 s[38:39], 0
	s_branch .LBB5_8
.LBB5_32:                               ;   in Loop: Header=BB5_5 Depth=1
	s_or_b64 exec, exec, s[34:35]
	s_and_b64 s[34:35], s[36:37], exec
	s_orn2_b64 s[2:3], s[30:31], exec
.LBB5_33:                               ;   in Loop: Header=BB5_5 Depth=1
	s_or_b64 exec, exec, s[28:29]
	s_andn2_b64 s[26:27], s[26:27], exec
	s_and_b64 s[30:31], s[34:35], exec
	s_mov_b64 s[28:29], -1
	s_or_b64 s[26:27], s[26:27], s[30:31]
	s_and_saveexec_b64 s[30:31], s[2:3]
	s_cbranch_execz .LBB5_4
; %bb.34:                               ;   in Loop: Header=BB5_5 Depth=1
	s_load_dword s2, s[4:5], 0x4
	v_pk_mov_b32 v[8:9], s[10:11], s[10:11] op_sel:[0,1]
	s_waitcnt lgkmcnt(0)
	s_add_u32 s16, s16, s2
	s_addc_u32 s17, s17, 0
	v_cmp_ge_i64_e32 vcc, s[16:17], v[8:9]
	s_andn2_b64 s[26:27], s[26:27], exec
	s_orn2_b64 s[28:29], vcc, exec
	s_branch .LBB5_4
.LBB5_35:
	s_or_b64 exec, exec, s[20:21]
	s_and_saveexec_b64 s[0:1], s[24:25]
	s_xor_b64 s[0:1], exec, s[0:1]
	s_cbranch_execnz .LBB5_37
.LBB5_36:
	s_endpgm
.LBB5_37:
	s_trap 2
	; divergent unreachable
	s_endpgm
	.section	.rodata,"a",@progbits
	.p2align	6, 0x0
	.amdhsa_kernel _ZN2at6native12_GLOBAL__N_132sampleMultinomialWithReplacementIdEEvNS_15PhiloxCudaStateEiPlliPKT_S7_
		.amdhsa_group_segment_fixed_size 0
		.amdhsa_private_segment_fixed_size 0
		.amdhsa_kernarg_size 336
		.amdhsa_user_sgpr_count 6
		.amdhsa_user_sgpr_private_segment_buffer 1
		.amdhsa_user_sgpr_dispatch_ptr 0
		.amdhsa_user_sgpr_queue_ptr 0
		.amdhsa_user_sgpr_kernarg_segment_ptr 1
		.amdhsa_user_sgpr_dispatch_id 0
		.amdhsa_user_sgpr_flat_scratch_init 0
		.amdhsa_user_sgpr_kernarg_preload_length 0
		.amdhsa_user_sgpr_kernarg_preload_offset 0
		.amdhsa_user_sgpr_private_segment_size 0
		.amdhsa_uses_dynamic_stack 0
		.amdhsa_system_sgpr_private_segment_wavefront_offset 0
		.amdhsa_system_sgpr_workgroup_id_x 1
		.amdhsa_system_sgpr_workgroup_id_y 1
		.amdhsa_system_sgpr_workgroup_id_z 0
		.amdhsa_system_sgpr_workgroup_info 0
		.amdhsa_system_vgpr_workitem_id 0
		.amdhsa_next_free_vgpr 44
		.amdhsa_next_free_sgpr 60
		.amdhsa_accum_offset 44
		.amdhsa_reserve_vcc 1
		.amdhsa_reserve_flat_scratch 0
		.amdhsa_float_round_mode_32 0
		.amdhsa_float_round_mode_16_64 0
		.amdhsa_float_denorm_mode_32 3
		.amdhsa_float_denorm_mode_16_64 3
		.amdhsa_dx10_clamp 1
		.amdhsa_ieee_mode 1
		.amdhsa_fp16_overflow 0
		.amdhsa_tg_split 0
		.amdhsa_exception_fp_ieee_invalid_op 0
		.amdhsa_exception_fp_denorm_src 0
		.amdhsa_exception_fp_ieee_div_zero 0
		.amdhsa_exception_fp_ieee_overflow 0
		.amdhsa_exception_fp_ieee_underflow 0
		.amdhsa_exception_fp_ieee_inexact 0
		.amdhsa_exception_int_div_zero 0
	.end_amdhsa_kernel
	.section	.text._ZN2at6native12_GLOBAL__N_132sampleMultinomialWithReplacementIdEEvNS_15PhiloxCudaStateEiPlliPKT_S7_,"axG",@progbits,_ZN2at6native12_GLOBAL__N_132sampleMultinomialWithReplacementIdEEvNS_15PhiloxCudaStateEiPlliPKT_S7_,comdat
.Lfunc_end5:
	.size	_ZN2at6native12_GLOBAL__N_132sampleMultinomialWithReplacementIdEEvNS_15PhiloxCudaStateEiPlliPKT_S7_, .Lfunc_end5-_ZN2at6native12_GLOBAL__N_132sampleMultinomialWithReplacementIdEEvNS_15PhiloxCudaStateEiPlliPKT_S7_
                                        ; -- End function
	.section	.AMDGPU.csdata,"",@progbits
; Kernel info:
; codeLenInByte = 2004
; NumSgprs: 64
; NumVgprs: 44
; NumAgprs: 0
; TotalNumVgprs: 44
; ScratchSize: 0
; MemoryBound: 0
; FloatMode: 240
; IeeeMode: 1
; LDSByteSize: 0 bytes/workgroup (compile time only)
; SGPRBlocks: 7
; VGPRBlocks: 5
; NumSGPRsForWavesPerEU: 64
; NumVGPRsForWavesPerEU: 44
; AccumOffset: 44
; Occupancy: 8
; WaveLimiterHint : 0
; COMPUTE_PGM_RSRC2:SCRATCH_EN: 0
; COMPUTE_PGM_RSRC2:USER_SGPR: 6
; COMPUTE_PGM_RSRC2:TRAP_HANDLER: 0
; COMPUTE_PGM_RSRC2:TGID_X_EN: 1
; COMPUTE_PGM_RSRC2:TGID_Y_EN: 1
; COMPUTE_PGM_RSRC2:TGID_Z_EN: 0
; COMPUTE_PGM_RSRC2:TIDIG_COMP_CNT: 0
; COMPUTE_PGM_RSRC3_GFX90A:ACCUM_OFFSET: 10
; COMPUTE_PGM_RSRC3_GFX90A:TG_SPLIT: 0
	.section	.text._ZN2at6native12_GLOBAL__N_121sampleMultinomialOnceIffEEvPlliPKT_S6_ii,"axG",@progbits,_ZN2at6native12_GLOBAL__N_121sampleMultinomialOnceIffEEvPlliPKT_S6_ii,comdat
	.globl	_ZN2at6native12_GLOBAL__N_121sampleMultinomialOnceIffEEvPlliPKT_S6_ii ; -- Begin function _ZN2at6native12_GLOBAL__N_121sampleMultinomialOnceIffEEvPlliPKT_S6_ii
	.p2align	8
	.type	_ZN2at6native12_GLOBAL__N_121sampleMultinomialOnceIffEEvPlliPKT_S6_ii,@function
_ZN2at6native12_GLOBAL__N_121sampleMultinomialOnceIffEEvPlliPKT_S6_ii: ; @_ZN2at6native12_GLOBAL__N_121sampleMultinomialOnceIffEEvPlliPKT_S6_ii
; %bb.0:
	s_load_dwordx4 s[80:83], s[4:5], 0x0
	s_mov_b32 s7, 0
	s_waitcnt lgkmcnt(0)
	v_pk_mov_b32 v[2:3], s[82:83], s[82:83] op_sel:[0,1]
	v_cmp_ge_i64_e32 vcc, s[6:7], v[2:3]
	s_cbranch_vccnz .LBB6_88
; %bb.1:
	s_load_dword s33, s[4:5], 0x10
	s_load_dwordx2 s[14:15], s[4:5], 0x28
	s_load_dwordx4 s[20:23], s[4:5], 0x18
	v_lshlrev_b32_e32 v2, 2, v0
	v_lshrrev_b32_e32 v4, 4, v0
	v_add_u32_e32 v8, 8, v2
	s_waitcnt lgkmcnt(0)
	s_ashr_i32 s16, s14, 31
	s_add_u32 s26, s4, 48
	v_add3_u32 v9, 8, -4, v2
	v_mul_lo_u32 v2, v0, s15
	s_addc_u32 s27, s5, 0
	v_and_b32_e32 v1, 63, v0
	s_add_i32 s12, s33, -1
	v_ashrrev_i32_e32 v3, 31, v2
                                        ; implicit-def: $vgpr22 : SGPR spill to VGPR lane
	v_add_u32_e32 v10, 8, v4
	v_mbcnt_lo_u32_b32 v4, -1, 0
	v_cmp_gt_i32_e64 s[0:1], s33, v0
	v_cmp_eq_u32_e64 s[2:3], 0, v1
	v_lshl_add_u32 v1, v1, 2, 8
	v_cmp_gt_u32_e64 s[4:5], 64, v0
	v_cmp_eq_u32_e64 s[8:9], 0, v0
	v_cmp_ne_u32_e64 s[10:11], 0, v0
	v_writelane_b32 v22, s12, 0
	s_mul_i32 s12, s15, s12
	s_mov_b64 s[28:29], 0
	v_lshlrev_b64 v[2:3], 2, v[2:3]
	s_mov_b32 s19, 0x7f800000
	v_mov_b32_e32 v5, 0
	v_mbcnt_hi_u32_b32 v11, -1, v4
	v_mov_b32_e32 v12, 8
	v_mov_b32_e32 v13, 1
	v_writelane_b32 v22, s12, 1
                                        ; implicit-def: $sgpr30_sgpr31
                                        ; implicit-def: $sgpr34_sgpr35
                                        ; implicit-def: $sgpr36_sgpr37
                                        ; implicit-def: $sgpr38_sgpr39
                                        ; implicit-def: $sgpr24_sgpr25
                                        ; implicit-def: $sgpr40_sgpr41
                                        ; implicit-def: $sgpr42_sgpr43
                                        ; implicit-def: $sgpr46_sgpr47
                                        ; implicit-def: $sgpr44_sgpr45
                                        ; implicit-def: $sgpr48_sgpr49
                                        ; implicit-def: $vgpr14
	s_branch .LBB6_5
.LBB6_2:                                ;   in Loop: Header=BB6_5 Depth=1
	s_or_b64 exec, exec, s[12:13]
	s_add_u32 s6, s6, s72
	s_addc_u32 s7, s7, 0
	v_pk_mov_b32 v[6:7], s[82:83], s[82:83] op_sel:[0,1]
	v_cmp_ge_i64_e32 vcc, s[6:7], v[6:7]
	s_andn2_b64 s[56:57], s[56:57], exec
	s_andn2_b64 s[54:55], s[54:55], exec
	;; [unrolled: 1-line block ×5, first 2 shown]
	s_orn2_b64 s[12:13], vcc, exec
.LBB6_3:                                ;   in Loop: Header=BB6_5 Depth=1
	s_or_b64 exec, exec, s[62:63]
	s_andn2_b64 s[46:47], s[46:47], exec
	s_and_b64 s[52:53], s[52:53], exec
	s_or_b64 s[46:47], s[46:47], s[52:53]
	s_andn2_b64 s[42:43], s[42:43], exec
	s_and_b64 s[52:53], s[60:61], exec
	s_andn2_b64 s[48:49], s[48:49], exec
	s_and_b64 s[56:57], s[56:57], exec
	;; [unrolled: 2-line block ×3, first 2 shown]
	s_or_b64 s[42:43], s[42:43], s[52:53]
	s_andn2_b64 s[40:41], s[40:41], exec
	s_and_b64 s[52:53], s[58:59], exec
	s_or_b64 s[48:49], s[48:49], s[56:57]
	s_or_b64 s[44:45], s[44:45], s[54:55]
	s_or_b64 s[40:41], s[40:41], s[52:53]
	s_orn2_b64 s[12:13], s[12:13], exec
.LBB6_4:                                ;   in Loop: Header=BB6_5 Depth=1
	s_or_b64 exec, exec, s[50:51]
	s_and_b64 s[12:13], exec, s[12:13]
	s_or_b64 s[28:29], s[12:13], s[28:29]
	s_andn2_b64 s[12:13], s[24:25], exec
	s_and_b64 s[24:25], s[48:49], exec
	s_or_b64 s[24:25], s[12:13], s[24:25]
	s_andn2_b64 s[12:13], s[38:39], exec
	s_and_b64 s[38:39], s[44:45], exec
	;; [unrolled: 3-line block ×5, first 2 shown]
	s_or_b64 s[30:31], s[12:13], s[30:31]
	s_andn2_b64 exec, exec, s[28:29]
	s_cbranch_execz .LBB6_73
.LBB6_5:                                ; =>This Loop Header: Depth=1
                                        ;     Child Loop BB6_14 Depth 2
                                        ;     Child Loop BB6_42 Depth 2
                                        ;       Child Loop BB6_47 Depth 3
                                        ;       Child Loop BB6_55 Depth 3
                                        ;     Child Loop BB6_62 Depth 2
	s_mov_b64 s[52:53], -1
	s_waitcnt lgkmcnt(0)
	v_mov_b32_e32 v4, 0
                                        ; implicit-def: $sgpr50_sgpr51
                                        ; implicit-def: $sgpr54_sgpr55
                                        ; implicit-def: $sgpr58_sgpr59
                                        ; implicit-def: $sgpr60_sgpr61
	s_and_saveexec_b64 s[12:13], s[0:1]
	s_cbranch_execz .LBB6_23
; %bb.6:                                ;   in Loop: Header=BB6_5 Depth=1
	s_mul_i32 s17, s6, s16
	s_mul_hi_u32 s18, s6, s14
	s_add_i32 s17, s18, s17
	s_mul_i32 s18, s7, s14
	s_add_i32 s51, s17, s18
	s_mul_i32 s50, s6, s14
	s_lshl_b64 s[50:51], s[50:51], 2
	s_add_u32 s18, s22, s50
	s_addc_u32 s72, s23, s51
	v_mov_b32_e32 v4, s72
	v_add_co_u32_e32 v6, vcc, s18, v2
	v_addc_co_u32_e32 v7, vcc, v4, v3, vcc
	global_load_dword v14, v[6:7], off
	s_mov_b64 s[56:57], -1
	s_mov_b64 s[52:53], 0
	v_mov_b32_e32 v4, 0
	s_mov_b64 s[54:55], 0
	s_mov_b64 s[62:63], 0
	;; [unrolled: 1-line block ×3, first 2 shown]
	s_waitcnt vmcnt(0)
	v_cmp_o_f32_e32 vcc, v14, v14
	s_and_saveexec_b64 s[50:51], vcc
	s_cbranch_execz .LBB6_22
; %bb.7:                                ;   in Loop: Header=BB6_5 Depth=1
	v_cmp_neq_f32_e64 s[60:61], |v14|, s19
	s_mov_b64 s[54:55], -1
	s_mov_b64 s[58:59], 0
	v_mov_b32_e32 v4, 0
	s_mov_b64 s[56:57], 0
	s_mov_b64 s[64:65], 0
	s_mov_b64 s[66:67], 0
	s_and_saveexec_b64 s[52:53], s[60:61]
	s_cbranch_execz .LBB6_21
; %bb.8:                                ;   in Loop: Header=BB6_5 Depth=1
	v_cmp_ngt_f32_e32 vcc, 0, v14
	s_mov_b64 s[56:57], -1
	v_mov_b32_e32 v4, 0
	s_mov_b64 s[60:61], 0
	s_and_saveexec_b64 s[54:55], vcc
	s_cbranch_execz .LBB6_20
; %bb.9:                                ;   in Loop: Header=BB6_5 Depth=1
	s_load_dword s17, s[26:27], 0xc
	v_add_f32_e32 v4, 0, v14
	s_mov_b64 s[58:59], -1
	s_mov_b64 s[68:69], -1
	s_mov_b64 s[70:71], 0
	s_waitcnt lgkmcnt(0)
	s_and_b32 s17, s17, 0xffff
	v_add_u32_e32 v15, s17, v0
	v_cmp_gt_i32_e32 vcc, s33, v15
	s_and_saveexec_b64 s[56:57], vcc
	s_cbranch_execz .LBB6_19
; %bb.10:                               ;   in Loop: Header=BB6_5 Depth=1
	v_writelane_b32 v22, s80, 2
	v_writelane_b32 v22, s81, 3
	;; [unrolled: 1-line block ×3, first 2 shown]
	v_mul_lo_u32 v6, s15, v15
	v_mov_b32_e32 v16, s72
	v_writelane_b32 v22, s83, 5
                                        ; implicit-def: $sgpr58_sgpr59
                                        ; implicit-def: $sgpr68_sgpr69
                                        ; implicit-def: $sgpr66_sgpr67
                                        ; implicit-def: $sgpr64_sgpr65
                                        ; implicit-def: $sgpr62_sgpr63
                                        ; implicit-def: $sgpr72_sgpr73
                                        ; implicit-def: $sgpr70_sgpr71
                                        ; implicit-def: $sgpr74_sgpr75
                                        ; implicit-def: $sgpr76_sgpr77
                                        ; implicit-def: $sgpr78_sgpr79
                                        ; implicit-def: $sgpr80_sgpr81
	s_branch .LBB6_14
.LBB6_11:                               ;   in Loop: Header=BB6_14 Depth=2
	s_or_b64 exec, exec, s[88:89]
	s_mov_b64 s[88:89], exec
	s_orn2_b64 s[94:95], s[92:93], exec
	s_xor_b64 s[92:93], exec, -1
	s_orn2_b64 s[90:91], s[90:91], exec
.LBB6_12:                               ;   in Loop: Header=BB6_14 Depth=2
	s_or_b64 exec, exec, s[86:87]
	s_andn2_b64 s[80:81], s[80:81], exec
	s_and_b64 s[86:87], s[94:95], exec
	s_or_b64 s[80:81], s[80:81], s[86:87]
	s_andn2_b64 s[78:79], s[78:79], exec
	s_and_b64 s[84:85], s[84:85], exec
	s_andn2_b64 s[76:77], s[76:77], exec
	s_and_b64 s[86:87], s[92:93], exec
	s_andn2_b64 s[70:71], s[70:71], exec
	s_or_b64 s[78:79], s[78:79], s[84:85]
	s_or_b64 s[76:77], s[76:77], s[86:87]
	s_andn2_b64 s[74:75], s[74:75], exec
	s_and_b64 s[86:87], s[88:89], exec
	s_or_b64 s[70:71], s[70:71], s[84:85]
	s_andn2_b64 s[72:73], s[72:73], exec
	s_and_b64 s[84:85], s[90:91], exec
	s_or_b64 s[74:75], s[74:75], s[86:87]
	s_or_b64 s[72:73], s[72:73], s[84:85]
.LBB6_13:                               ;   in Loop: Header=BB6_14 Depth=2
	s_or_b64 exec, exec, s[82:83]
	s_xor_b64 s[82:83], s[80:81], -1
	s_and_b64 s[84:85], exec, s[72:73]
	s_or_b64 s[60:61], s[84:85], s[60:61]
	s_andn2_b64 s[62:63], s[62:63], exec
	s_and_b64 s[84:85], s[78:79], exec
	s_or_b64 s[62:63], s[62:63], s[84:85]
	s_andn2_b64 s[64:65], s[64:65], exec
	s_and_b64 s[84:85], s[76:77], exec
	;; [unrolled: 3-line block ×4, first 2 shown]
	s_andn2_b64 s[58:59], s[58:59], exec
	s_and_b64 s[82:83], s[82:83], exec
	s_or_b64 s[68:69], s[68:69], s[84:85]
	s_or_b64 s[58:59], s[58:59], s[82:83]
	s_andn2_b64 exec, exec, s[60:61]
	s_cbranch_execz .LBB6_18
.LBB6_14:                               ;   Parent Loop BB6_5 Depth=1
                                        ; =>  This Inner Loop Header: Depth=2
	v_ashrrev_i32_e32 v7, 31, v6
	v_lshlrev_b64 v[18:19], 2, v[6:7]
	v_add_co_u32_e32 v18, vcc, s18, v18
	v_addc_co_u32_e32 v19, vcc, v16, v19, vcc
	global_load_dword v14, v[18:19], off
	s_or_b64 s[80:81], s[80:81], exec
	s_or_b64 s[78:79], s[78:79], exec
	s_andn2_b64 s[76:77], s[76:77], exec
	s_andn2_b64 s[74:75], s[74:75], exec
	;; [unrolled: 1-line block ×3, first 2 shown]
	s_or_b64 s[72:73], s[72:73], exec
	s_waitcnt vmcnt(0)
	v_cmp_o_f32_e32 vcc, v14, v14
	s_and_saveexec_b64 s[82:83], vcc
	s_cbranch_execz .LBB6_13
; %bb.15:                               ;   in Loop: Header=BB6_14 Depth=2
	v_cmp_neq_f32_e64 vcc, |v14|, s19
	s_mov_b64 s[84:85], 0
	s_mov_b64 s[90:91], -1
	s_mov_b64 s[88:89], 0
	s_mov_b64 s[92:93], -1
	s_mov_b64 s[94:95], -1
	s_and_saveexec_b64 s[86:87], vcc
	s_cbranch_execz .LBB6_12
; %bb.16:                               ;   in Loop: Header=BB6_14 Depth=2
	v_cmp_ngt_f32_e32 vcc, 0, v14
	s_and_saveexec_b64 s[88:89], vcc
	s_cbranch_execz .LBB6_11
; %bb.17:                               ;   in Loop: Header=BB6_14 Depth=2
	v_add_u32_e32 v15, s17, v15
	s_mul_i32 s90, s15, s17
	v_cmp_le_i32_e32 vcc, s33, v15
	v_add_f32_e32 v4, v4, v14
	v_add_u32_e32 v6, s90, v6
	s_xor_b64 s[92:93], exec, -1
	s_orn2_b64 s[90:91], vcc, exec
	s_branch .LBB6_11
.LBB6_18:                               ;   in Loop: Header=BB6_5 Depth=1
	s_or_b64 exec, exec, s[60:61]
	v_readlane_b32 s80, v22, 2
	s_and_b64 s[70:71], s[68:69], exec
	s_orn2_b64 s[68:69], s[66:67], exec
	s_and_b64 s[64:65], s[64:65], exec
	s_and_b64 s[60:61], s[62:63], exec
	s_orn2_b64 s[58:59], s[58:59], exec
	v_readlane_b32 s81, v22, 3
	v_readlane_b32 s82, v22, 4
	;; [unrolled: 1-line block ×3, first 2 shown]
.LBB6_19:                               ;   in Loop: Header=BB6_5 Depth=1
	s_or_b64 exec, exec, s[56:57]
	s_and_b64 s[66:67], s[70:71], exec
	s_orn2_b64 s[56:57], s[68:69], exec
	s_and_b64 s[62:63], s[64:65], exec
	s_and_b64 s[60:61], s[60:61], exec
	;; [unrolled: 1-line block ×3, first 2 shown]
.LBB6_20:                               ;   in Loop: Header=BB6_5 Depth=1
	s_or_b64 exec, exec, s[54:55]
	s_and_b64 s[66:67], s[66:67], exec
	s_and_b64 s[64:65], s[56:57], exec
	s_orn2_b64 s[54:55], s[62:63], exec
	s_and_b64 s[56:57], s[60:61], exec
	s_and_b64 s[58:59], s[58:59], exec
.LBB6_21:                               ;   in Loop: Header=BB6_5 Depth=1
	s_or_b64 exec, exec, s[52:53]
	s_and_b64 s[60:61], s[66:67], exec
	s_and_b64 s[62:63], s[64:65], exec
	s_and_b64 s[54:55], s[54:55], exec
	s_orn2_b64 s[56:57], s[56:57], exec
	s_and_b64 s[52:53], s[58:59], exec
.LBB6_22:                               ;   in Loop: Header=BB6_5 Depth=1
	s_or_b64 exec, exec, s[50:51]
	s_and_b64 s[60:61], s[60:61], exec
	s_and_b64 s[58:59], s[62:63], exec
	;; [unrolled: 1-line block ×4, first 2 shown]
	s_orn2_b64 s[52:53], s[52:53], exec
.LBB6_23:                               ;   in Loop: Header=BB6_5 Depth=1
	s_or_b64 exec, exec, s[12:13]
	s_andn2_b64 s[48:49], s[48:49], exec
	s_and_b64 s[56:57], s[60:61], exec
	s_andn2_b64 s[44:45], s[44:45], exec
	s_or_b64 s[48:49], s[48:49], s[56:57]
	s_or_b64 s[44:45], s[44:45], s[56:57]
	s_andn2_b64 s[46:47], s[46:47], exec
	s_and_b64 s[56:57], s[58:59], exec
	s_andn2_b64 s[42:43], s[42:43], exec
	s_and_b64 s[54:55], s[54:55], exec
	;; [unrolled: 2-line block ×3, first 2 shown]
	s_mov_b64 s[12:13], -1
	s_or_b64 s[46:47], s[46:47], s[56:57]
	s_or_b64 s[42:43], s[42:43], s[54:55]
	;; [unrolled: 1-line block ×3, first 2 shown]
	s_and_saveexec_b64 s[50:51], s[52:53]
	s_cbranch_execz .LBB6_4
; %bb.24:                               ;   in Loop: Header=BB6_5 Depth=1
	v_and_b32_e32 v15, 63, v11
	v_cmp_gt_u32_e32 vcc, 32, v15
	v_cndmask_b32_e64 v6, 0, 1, vcc
	v_lshlrev_b32_e32 v6, 5, v6
	v_add_lshl_u32 v6, v6, v11, 2
	ds_bpermute_b32 v7, v6, v4
	v_cmp_gt_u32_e32 vcc, 48, v15
	v_cndmask_b32_e64 v16, 0, 1, vcc
	v_lshlrev_b32_e32 v16, 4, v16
	v_cmp_gt_u32_e32 vcc, 56, v15
	s_waitcnt lgkmcnt(0)
	v_add_f32_e32 v7, v4, v7
	v_add_lshl_u32 v4, v16, v11, 2
	ds_bpermute_b32 v16, v4, v7
	v_cndmask_b32_e64 v17, 0, 1, vcc
	v_lshlrev_b32_e32 v17, 3, v17
	v_cmp_gt_u32_e32 vcc, 60, v15
	v_cndmask_b32_e64 v18, 0, 1, vcc
	s_waitcnt lgkmcnt(0)
	v_add_f32_e32 v16, v7, v16
	v_add_lshl_u32 v7, v17, v11, 2
	ds_bpermute_b32 v17, v7, v16
	v_lshlrev_b32_e32 v18, 2, v18
	v_cmp_gt_u32_e32 vcc, 62, v15
	v_cndmask_b32_e64 v19, 0, 1, vcc
	v_lshlrev_b32_e32 v19, 1, v19
	s_waitcnt lgkmcnt(0)
	v_add_f32_e32 v17, v16, v17
	v_add_lshl_u32 v16, v18, v11, 2
	ds_bpermute_b32 v18, v16, v17
	v_cmp_ne_u32_e32 vcc, 63, v15
	v_addc_co_u32_e32 v20, vcc, 0, v11, vcc
	s_waitcnt lgkmcnt(0)
	v_add_f32_e32 v18, v17, v18
	v_add_lshl_u32 v17, v19, v11, 2
	ds_bpermute_b32 v19, v17, v18
	s_barrier
	s_waitcnt lgkmcnt(0)
	v_add_f32_e32 v15, v18, v19
	v_lshlrev_b32_e32 v18, 2, v20
	ds_bpermute_b32 v19, v18, v15
	s_and_saveexec_b64 s[12:13], s[2:3]
	s_cbranch_execz .LBB6_26
; %bb.25:                               ;   in Loop: Header=BB6_5 Depth=1
	s_waitcnt lgkmcnt(0)
	v_add_f32_e32 v15, v15, v19
	ds_write_b32 v10, v15
.LBB6_26:                               ;   in Loop: Header=BB6_5 Depth=1
	s_or_b64 exec, exec, s[12:13]
	s_waitcnt lgkmcnt(0)
	s_barrier
	s_load_dword s17, s[26:27], 0xc
	s_load_dword s72, s[26:27], 0x0
	v_mov_b32_e32 v15, 0
	s_waitcnt lgkmcnt(0)
	s_bfe_u32 s12, s17, 0xa0006
	v_cmp_gt_u32_e32 vcc, s12, v0
	s_and_saveexec_b64 s[12:13], vcc
	s_cbranch_execz .LBB6_28
; %bb.27:                               ;   in Loop: Header=BB6_5 Depth=1
	ds_read_b32 v15, v1
.LBB6_28:                               ;   in Loop: Header=BB6_5 Depth=1
	s_or_b64 exec, exec, s[12:13]
	s_and_saveexec_b64 s[12:13], s[4:5]
	s_cbranch_execz .LBB6_30
; %bb.29:                               ;   in Loop: Header=BB6_5 Depth=1
	s_waitcnt lgkmcnt(0)
	ds_bpermute_b32 v6, v6, v15
	s_waitcnt lgkmcnt(0)
	v_add_f32_e32 v6, v15, v6
	ds_bpermute_b32 v4, v4, v6
	s_waitcnt lgkmcnt(0)
	v_add_f32_e32 v4, v6, v4
	;; [unrolled: 3-line block ×6, first 2 shown]
.LBB6_30:                               ;   in Loop: Header=BB6_5 Depth=1
	s_or_b64 exec, exec, s[12:13]
	s_mov_b64 s[12:13], -1
	s_mov_b64 s[64:65], -1
                                        ; implicit-def: $sgpr54_sgpr55
                                        ; implicit-def: $sgpr56_sgpr57
                                        ; implicit-def: $sgpr52_sgpr53
                                        ; implicit-def: $sgpr60_sgpr61
                                        ; implicit-def: $sgpr58_sgpr59
	s_and_saveexec_b64 s[62:63], s[8:9]
	s_cbranch_execz .LBB6_36
; %bb.31:                               ;   in Loop: Header=BB6_5 Depth=1
	v_cmp_neq_f32_e64 s[56:57], |v14|, s19
	s_mov_b64 s[58:59], -1
	s_mov_b64 s[52:53], 0
	s_mov_b64 s[60:61], 0
	;; [unrolled: 1-line block ×3, first 2 shown]
	s_and_saveexec_b64 s[54:55], s[56:57]
	s_cbranch_execz .LBB6_35
; %bb.32:                               ;   in Loop: Header=BB6_5 Depth=1
	s_waitcnt lgkmcnt(0)
	v_cmp_lt_f32_e32 vcc, 0, v15
	s_mov_b64 s[56:57], 0
	s_and_saveexec_b64 s[58:59], vcc
	s_cbranch_execz .LBB6_34
; %bb.33:                               ;   in Loop: Header=BB6_5 Depth=1
	s_lshl_b64 s[60:61], s[6:7], 2
	s_add_u32 s60, s20, s60
	s_addc_u32 s61, s21, s61
	global_load_dword v4, v5, s[60:61]
	s_mov_b64 s[56:57], exec
	ds_write_b32 v5, v5
	s_waitcnt vmcnt(0)
	ds_write2_b32 v12, v15, v4 offset1:1
.LBB6_34:                               ;   in Loop: Header=BB6_5 Depth=1
	s_or_b64 exec, exec, s[58:59]
	s_mov_b64 s[64:65], exec
	s_xor_b64 s[58:59], exec, -1
	s_and_b64 s[60:61], s[56:57], exec
.LBB6_35:                               ;   in Loop: Header=BB6_5 Depth=1
	s_or_b64 exec, exec, s[54:55]
	s_and_b64 s[56:57], s[64:65], exec
	s_and_b64 s[54:55], s[58:59], exec
	s_orn2_b64 s[64:65], s[60:61], exec
	s_mov_b64 s[60:61], 0
	s_mov_b64 s[58:59], 0
.LBB6_36:                               ;   in Loop: Header=BB6_5 Depth=1
	s_or_b64 exec, exec, s[62:63]
	s_and_saveexec_b64 s[62:63], s[64:65]
	s_cbranch_execz .LBB6_3
; %bb.37:                               ;   in Loop: Header=BB6_5 Depth=1
	s_waitcnt lgkmcnt(0)
	s_barrier
	ds_read2_b32 v[6:7], v12 offset1:1
	s_waitcnt lgkmcnt(0)
	s_barrier
	v_cmp_neq_f32_e32 vcc, 0, v6
	s_cbranch_vccz .LBB6_65
; %bb.38:                               ;   in Loop: Header=BB6_5 Depth=1
	s_and_b32 s18, s17, 0xffff
	v_cvt_f32_u32_e32 v4, s18
	s_sub_i32 s13, 0, s18
	v_readlane_b32 s12, v22, 0
	s_add_i32 s12, s12, s18
	v_rcp_iflag_f32_e32 v4, v4
	ds_write_b8 v5, v5 offset:4
	v_mul_f32_e32 v4, 0x4f7ffffe, v4
	v_cvt_u32_f32_e32 v4, v4
	v_readfirstlane_b32 s17, v4
	s_mul_i32 s13, s13, s17
	s_mul_hi_u32 s13, s17, s13
	s_add_i32 s17, s17, s13
	s_mul_hi_u32 s13, s12, s17
	s_mul_i32 s17, s13, s18
	s_sub_i32 s12, s12, s17
	s_add_i32 s64, s13, 1
	s_sub_i32 s17, s12, s18
	s_cmp_ge_u32 s12, s18
	s_cselect_b32 s13, s64, s13
	s_cselect_b32 s12, s17, s12
	s_add_i32 s17, s13, 1
	s_cmp_ge_u32 s12, s18
	s_cselect_b32 s17, s17, s13
	s_cmp_lt_i32 s17, 1
	s_mov_b64 s[12:13], 0
	s_cbranch_scc1 .LBB6_58
; %bb.39:                               ;   in Loop: Header=BB6_5 Depth=1
	s_mul_i32 s12, s6, s16
	s_mul_hi_u32 s13, s6, s14
	s_add_i32 s12, s13, s12
	s_mul_i32 s13, s7, s14
	s_add_i32 s13, s12, s13
	s_mul_i32 s12, s6, s14
	s_lshl_b64 s[12:13], s[12:13], 2
	s_add_u32 s68, s22, s12
	s_addc_u32 s69, s23, s13
	s_cmp_gt_u32 s18, 1
	s_cselect_b64 s[64:65], -1, 0
	s_lshl_b32 s12, s18, 2
	s_add_i32 s70, s12, 8
	s_add_i32 s70, s70, -4
	s_mov_b32 s71, 0
	v_mov_b32_e32 v4, 0
	s_branch .LBB6_42
.LBB6_40:                               ;   in Loop: Header=BB6_42 Depth=2
	s_or_b64 exec, exec, s[66:67]
	ds_write_b8 v5, v13 offset:4
.LBB6_41:                               ;   in Loop: Header=BB6_42 Depth=2
	s_or_b64 exec, exec, s[12:13]
	v_mov_b32_e32 v15, s70
	ds_read_b32 v15, v15
	s_waitcnt lgkmcnt(0)
	s_barrier
	ds_read_u8 v16, v5 offset:4
	s_add_i32 s71, s71, 1
	s_cmp_ge_i32 s71, s17
	s_cselect_b64 s[66:67], -1, 0
	v_add_f32_e32 v4, v4, v15
	s_waitcnt lgkmcnt(0)
	v_readfirstlane_b32 s12, v16
	s_bitcmp1_b32 s12, 0
	s_cselect_b64 s[12:13], -1, 0
	s_or_b64 s[66:67], s[66:67], s[12:13]
	s_and_b64 vcc, exec, s[66:67]
	s_cbranch_vccnz .LBB6_58
.LBB6_42:                               ;   Parent Loop BB6_5 Depth=1
                                        ; =>  This Loop Header: Depth=2
                                        ;       Child Loop BB6_47 Depth 3
                                        ;       Child Loop BB6_55 Depth 3
	s_mul_i32 s12, s71, s18
	v_add_u32_e32 v15, s12, v0
	v_cmp_gt_i32_e64 s[12:13], s33, v15
	v_mov_b32_e32 v16, 0
	s_and_saveexec_b64 s[66:67], s[12:13]
	s_cbranch_execz .LBB6_44
; %bb.43:                               ;   in Loop: Header=BB6_42 Depth=2
	v_mul_lo_u32 v16, v15, s15
	v_ashrrev_i32_e32 v17, 31, v16
	v_lshlrev_b64 v[16:17], 2, v[16:17]
	v_mov_b32_e32 v18, s69
	v_add_co_u32_e32 v16, vcc, s68, v16
	v_addc_co_u32_e32 v17, vcc, v18, v17, vcc
	global_load_dword v16, v[16:17], off
	s_waitcnt vmcnt(0)
	v_div_scale_f32 v17, s[74:75], v6, v6, v16
	v_rcp_f32_e32 v18, v17
	v_div_scale_f32 v19, vcc, v16, v6, v16
	v_fma_f32 v20, -v17, v18, 1.0
	v_fmac_f32_e32 v18, v20, v18
	v_mul_f32_e32 v20, v19, v18
	v_fma_f32 v21, -v17, v20, v19
	v_fmac_f32_e32 v20, v21, v18
	v_fma_f32 v17, -v17, v20, v19
	v_div_fmas_f32 v17, v17, v18, v20
	v_div_fixup_f32 v16, v17, v6, v16
.LBB6_44:                               ;   in Loop: Header=BB6_42 Depth=2
	s_or_b64 exec, exec, s[66:67]
	s_andn2_b64 vcc, exec, s[64:65]
	ds_write_b32 v8, v16
	s_waitcnt lgkmcnt(0)
	s_barrier
	s_cbranch_vccnz .LBB6_51
; %bb.45:                               ;   in Loop: Header=BB6_42 Depth=2
	s_mov_b32 s73, 1
	s_branch .LBB6_47
.LBB6_46:                               ;   in Loop: Header=BB6_47 Depth=3
	s_or_b64 exec, exec, s[66:67]
	s_lshl_b32 s73, s73, 1
	s_cmp_ge_u32 s73, s18
	s_waitcnt lgkmcnt(0)
	s_barrier
	s_cbranch_scc1 .LBB6_51
.LBB6_47:                               ;   Parent Loop BB6_5 Depth=1
                                        ;     Parent Loop BB6_42 Depth=2
                                        ; =>    This Inner Loop Header: Depth=3
	v_cmp_le_u32_e32 vcc, s73, v0
	v_mov_b32_e32 v17, 0
	s_and_saveexec_b64 s[66:67], vcc
	s_cbranch_execz .LBB6_49
; %bb.48:                               ;   in Loop: Header=BB6_47 Depth=3
	v_subrev_u32_e32 v17, s73, v0
	v_lshl_add_u32 v17, v17, 2, 8
	ds_read_b32 v17, v17
	ds_read_b32 v18, v8
	s_waitcnt lgkmcnt(0)
	v_add_f32_e32 v17, v17, v18
.LBB6_49:                               ;   in Loop: Header=BB6_47 Depth=3
	s_or_b64 exec, exec, s[66:67]
	s_barrier
	s_and_saveexec_b64 s[66:67], vcc
	s_cbranch_execz .LBB6_46
; %bb.50:                               ;   in Loop: Header=BB6_47 Depth=3
	ds_write_b32 v8, v17
	s_branch .LBB6_46
.LBB6_51:                               ;   in Loop: Header=BB6_42 Depth=2
	ds_read_b32 v17, v8
	v_mov_b32_e32 v18, v4
	s_and_saveexec_b64 s[66:67], s[10:11]
	s_cbranch_execz .LBB6_53
; %bb.52:                               ;   in Loop: Header=BB6_42 Depth=2
	ds_read_b32 v18, v9
	s_waitcnt lgkmcnt(0)
	v_add_f32_e32 v18, v4, v18
.LBB6_53:                               ;   in Loop: Header=BB6_42 Depth=2
	s_or_b64 exec, exec, s[66:67]
	s_waitcnt lgkmcnt(0)
	v_add_f32_e32 v17, v4, v17
	v_cmp_nge_f32_e32 vcc, v7, v17
	s_and_b64 s[12:13], s[12:13], vcc
	v_cmp_ge_f32_e32 vcc, v7, v18
	s_and_b64 s[12:13], s[12:13], vcc
	v_cmp_lt_f32_e32 vcc, 0, v16
	s_and_b64 s[66:67], s[12:13], vcc
	s_and_saveexec_b64 s[12:13], s[66:67]
	s_cbranch_execz .LBB6_41
; %bb.54:                               ;   in Loop: Header=BB6_42 Depth=2
	s_mov_b64 s[66:67], exec
	s_mov_b32 s73, 0
.LBB6_55:                               ;   Parent Loop BB6_5 Depth=1
                                        ;     Parent Loop BB6_42 Depth=2
                                        ; =>    This Inner Loop Header: Depth=3
	s_ff1_i32_b64 s74, s[66:67]
	v_readlane_b32 s76, v15, s74
	s_lshl_b64 s[74:75], 1, s74
	s_max_u32 s73, s73, s76
	s_andn2_b64 s[66:67], s[66:67], s[74:75]
	s_cmp_lg_u64 s[66:67], 0
	s_cbranch_scc1 .LBB6_55
; %bb.56:                               ;   in Loop: Header=BB6_42 Depth=2
	v_mbcnt_lo_u32_b32 v15, exec_lo, 0
	v_mbcnt_hi_u32_b32 v15, exec_hi, v15
	v_cmp_eq_u32_e32 vcc, 0, v15
	s_and_saveexec_b64 s[66:67], vcc
	s_xor_b64 s[66:67], exec, s[66:67]
	s_cbranch_execz .LBB6_40
; %bb.57:                               ;   in Loop: Header=BB6_42 Depth=2
	v_mov_b32_e32 v15, s73
	ds_max_u32 v5, v15
	s_branch .LBB6_40
.LBB6_58:                               ;   in Loop: Header=BB6_5 Depth=1
	s_xor_b64 s[68:69], s[12:13], -1
	s_mov_b64 s[12:13], 0
	s_mov_b64 s[66:67], 0
	s_and_saveexec_b64 s[64:65], s[8:9]
	s_cbranch_execz .LBB6_69
; %bb.59:                               ;   in Loop: Header=BB6_5 Depth=1
	s_and_b64 vcc, exec, s[68:69]
	s_cbranch_vccz .LBB6_66
; %bb.60:                               ;   in Loop: Header=BB6_5 Depth=1
	s_mul_i32 s17, s6, s16
	s_mul_hi_u32 s18, s6, s14
	s_add_i32 s17, s18, s17
	s_mul_i32 s18, s7, s14
	s_add_i32 s67, s17, s18
	s_mul_i32 s66, s6, s14
	s_lshl_b64 s[66:67], s[66:67], 2
	s_add_u32 s18, s22, s66
	v_readlane_b32 s17, v22, 1
	s_addc_u32 s73, s23, s67
	s_mov_b32 s66, s17
	s_mov_b32 s17, s33
	s_branch .LBB6_62
.LBB6_61:                               ;   in Loop: Header=BB6_62 Depth=2
	s_ashr_i32 s67, s66, 31
	s_add_i32 s17, s17, -1
	s_lshl_b64 s[68:69], s[66:67], 2
	s_add_u32 s68, s18, s68
	s_addc_u32 s69, s73, s69
	global_load_dword v4, v5, s[68:69]
	s_sub_i32 s66, s66, s15
	s_mov_b64 s[68:69], 0
	s_waitcnt vmcnt(0)
	v_cmp_lt_f32_e64 s[70:71], 0, v4
	s_andn2_b64 vcc, exec, s[70:71]
	s_cbranch_vccz .LBB6_64
.LBB6_62:                               ;   Parent Loop BB6_5 Depth=1
                                        ; =>  This Inner Loop Header: Depth=2
	s_cmp_lt_i32 s17, 1
	s_cbranch_scc0 .LBB6_61
; %bb.63:                               ;   in Loop: Header=BB6_5 Depth=1
	s_mov_b64 s[68:69], -1
                                        ; implicit-def: $sgpr66
                                        ; implicit-def: $sgpr17
.LBB6_64:                               ;   in Loop: Header=BB6_5 Depth=1
	s_xor_b64 s[66:67], s[68:69], -1
	v_mov_b32_e32 v4, s17
	s_branch .LBB6_68
.LBB6_65:                               ;   in Loop: Header=BB6_5 Depth=1
	s_mov_b64 s[66:67], 0
	s_and_b64 vcc, exec, s[12:13]
	s_cbranch_vccnz .LBB6_70
	s_branch .LBB6_71
.LBB6_66:                               ;   in Loop: Header=BB6_5 Depth=1
                                        ; implicit-def: $sgpr17
	v_mov_b32_e32 v4, s17
	s_cbranch_execz .LBB6_68
; %bb.67:                               ;   in Loop: Header=BB6_5 Depth=1
	ds_read_b32 v4, v5
	s_mov_b64 s[66:67], -1
.LBB6_68:                               ;   in Loop: Header=BB6_5 Depth=1
	s_and_b64 s[66:67], s[66:67], exec
.LBB6_69:                               ;   in Loop: Header=BB6_5 Depth=1
	s_or_b64 exec, exec, s[64:65]
	s_and_b64 vcc, exec, s[12:13]
	s_cbranch_vccz .LBB6_71
.LBB6_70:                               ;   in Loop: Header=BB6_5 Depth=1
	s_andn2_b64 s[12:13], s[66:67], exec
	s_and_b64 s[64:65], s[8:9], exec
	s_waitcnt lgkmcnt(0)
	v_mov_b32_e32 v4, 0
	s_or_b64 s[66:67], s[12:13], s[64:65]
.LBB6_71:                               ;   in Loop: Header=BB6_5 Depth=1
	s_and_saveexec_b64 s[12:13], s[66:67]
	s_cbranch_execz .LBB6_2
; %bb.72:                               ;   in Loop: Header=BB6_5 Depth=1
	s_lshl_b64 s[64:65], s[6:7], 3
	s_add_u32 s64, s80, s64
	s_addc_u32 s65, s81, s65
	s_waitcnt lgkmcnt(0)
	global_store_dwordx2 v5, v[4:5], s[64:65]
	s_branch .LBB6_2
.LBB6_73:
	s_or_b64 exec, exec, s[28:29]
	s_xor_b64 s[6:7], s[38:39], -1
	s_xor_b64 s[10:11], s[36:37], -1
	;; [unrolled: 1-line block ×4, first 2 shown]
	s_mov_b64 s[2:3], 0
	s_and_saveexec_b64 s[4:5], s[0:1]
	s_xor_b64 s[0:1], exec, s[4:5]
	s_cbranch_execz .LBB6_85
; %bb.74:
	s_mov_b64 s[4:5], 0
	s_and_saveexec_b64 s[2:3], s[8:9]
	s_xor_b64 s[2:3], exec, s[2:3]
	s_cbranch_execz .LBB6_83
; %bb.75:
	;; [unrolled: 5-line block ×3, first 2 shown]
	s_and_saveexec_b64 s[10:11], s[6:7]
	s_xor_b64 s[6:7], exec, s[10:11]
	s_cbranch_execz .LBB6_79
; %bb.77:
	s_and_saveexec_b64 s[10:11], s[24:25]
	s_xor_b64 s[10:11], exec, s[10:11]
	s_cbranch_execnz .LBB6_93
.LBB6_78:
	s_or_b64 exec, exec, s[10:11]
	s_and_b64 s[8:9], s[8:9], exec
.LBB6_79:
	s_andn2_saveexec_b64 s[6:7], s[6:7]
	s_cbranch_execnz .LBB6_92
.LBB6_80:
	s_or_b64 exec, exec, s[6:7]
	s_and_b64 s[8:9], s[8:9], exec
.LBB6_81:
	s_andn2_saveexec_b64 s[4:5], s[4:5]
	s_cbranch_execnz .LBB6_91
.LBB6_82:
	s_or_b64 exec, exec, s[4:5]
	s_and_b64 s[4:5], s[8:9], exec
.LBB6_83:
	s_andn2_saveexec_b64 s[2:3], s[2:3]
	s_cbranch_execnz .LBB6_90
.LBB6_84:
	s_or_b64 exec, exec, s[2:3]
	s_and_b64 s[2:3], s[4:5], exec
.LBB6_85:
	s_andn2_saveexec_b64 s[0:1], s[0:1]
	s_cbranch_execnz .LBB6_89
; %bb.86:
	s_or_b64 exec, exec, s[0:1]
	s_and_saveexec_b64 s[0:1], s[2:3]
.LBB6_87:
	; divergent unreachable
.LBB6_88:
	s_endpgm
.LBB6_89:
	s_or_b64 s[2:3], s[2:3], exec
	s_trap 2
	s_or_b64 exec, exec, s[0:1]
	s_and_saveexec_b64 s[0:1], s[2:3]
	s_cbranch_execnz .LBB6_87
	s_branch .LBB6_88
.LBB6_90:
	s_or_b64 s[4:5], s[4:5], exec
	s_trap 2
	s_branch .LBB6_84
.LBB6_91:
	s_or_b64 s[8:9], s[8:9], exec
	s_trap 2
	s_branch .LBB6_82
.LBB6_92:
	s_or_b64 s[8:9], s[8:9], exec
	s_trap 2
	s_branch .LBB6_80
.LBB6_93:
	s_mov_b64 s[8:9], exec
	s_trap 2
	s_branch .LBB6_78
	.section	.rodata,"a",@progbits
	.p2align	6, 0x0
	.amdhsa_kernel _ZN2at6native12_GLOBAL__N_121sampleMultinomialOnceIffEEvPlliPKT_S6_ii
		.amdhsa_group_segment_fixed_size 8
		.amdhsa_private_segment_fixed_size 0
		.amdhsa_kernarg_size 304
		.amdhsa_user_sgpr_count 6
		.amdhsa_user_sgpr_private_segment_buffer 1
		.amdhsa_user_sgpr_dispatch_ptr 0
		.amdhsa_user_sgpr_queue_ptr 0
		.amdhsa_user_sgpr_kernarg_segment_ptr 1
		.amdhsa_user_sgpr_dispatch_id 0
		.amdhsa_user_sgpr_flat_scratch_init 0
		.amdhsa_user_sgpr_kernarg_preload_length 0
		.amdhsa_user_sgpr_kernarg_preload_offset 0
		.amdhsa_user_sgpr_private_segment_size 0
		.amdhsa_uses_dynamic_stack 0
		.amdhsa_system_sgpr_private_segment_wavefront_offset 0
		.amdhsa_system_sgpr_workgroup_id_x 1
		.amdhsa_system_sgpr_workgroup_id_y 0
		.amdhsa_system_sgpr_workgroup_id_z 0
		.amdhsa_system_sgpr_workgroup_info 0
		.amdhsa_system_vgpr_workitem_id 0
		.amdhsa_next_free_vgpr 23
		.amdhsa_next_free_sgpr 96
		.amdhsa_accum_offset 24
		.amdhsa_reserve_vcc 1
		.amdhsa_reserve_flat_scratch 0
		.amdhsa_float_round_mode_32 0
		.amdhsa_float_round_mode_16_64 0
		.amdhsa_float_denorm_mode_32 3
		.amdhsa_float_denorm_mode_16_64 3
		.amdhsa_dx10_clamp 1
		.amdhsa_ieee_mode 1
		.amdhsa_fp16_overflow 0
		.amdhsa_tg_split 0
		.amdhsa_exception_fp_ieee_invalid_op 0
		.amdhsa_exception_fp_denorm_src 0
		.amdhsa_exception_fp_ieee_div_zero 0
		.amdhsa_exception_fp_ieee_overflow 0
		.amdhsa_exception_fp_ieee_underflow 0
		.amdhsa_exception_fp_ieee_inexact 0
		.amdhsa_exception_int_div_zero 0
	.end_amdhsa_kernel
	.section	.text._ZN2at6native12_GLOBAL__N_121sampleMultinomialOnceIffEEvPlliPKT_S6_ii,"axG",@progbits,_ZN2at6native12_GLOBAL__N_121sampleMultinomialOnceIffEEvPlliPKT_S6_ii,comdat
.Lfunc_end6:
	.size	_ZN2at6native12_GLOBAL__N_121sampleMultinomialOnceIffEEvPlliPKT_S6_ii, .Lfunc_end6-_ZN2at6native12_GLOBAL__N_121sampleMultinomialOnceIffEEvPlliPKT_S6_ii
                                        ; -- End function
	.section	.AMDGPU.csdata,"",@progbits
; Kernel info:
; codeLenInByte = 3132
; NumSgprs: 100
; NumVgprs: 23
; NumAgprs: 0
; TotalNumVgprs: 23
; ScratchSize: 0
; MemoryBound: 0
; FloatMode: 240
; IeeeMode: 1
; LDSByteSize: 8 bytes/workgroup (compile time only)
; SGPRBlocks: 12
; VGPRBlocks: 2
; NumSGPRsForWavesPerEU: 100
; NumVGPRsForWavesPerEU: 23
; AccumOffset: 24
; Occupancy: 8
; WaveLimiterHint : 0
; COMPUTE_PGM_RSRC2:SCRATCH_EN: 0
; COMPUTE_PGM_RSRC2:USER_SGPR: 6
; COMPUTE_PGM_RSRC2:TRAP_HANDLER: 0
; COMPUTE_PGM_RSRC2:TGID_X_EN: 1
; COMPUTE_PGM_RSRC2:TGID_Y_EN: 0
; COMPUTE_PGM_RSRC2:TGID_Z_EN: 0
; COMPUTE_PGM_RSRC2:TIDIG_COMP_CNT: 0
; COMPUTE_PGM_RSRC3_GFX90A:ACCUM_OFFSET: 5
; COMPUTE_PGM_RSRC3_GFX90A:TG_SPLIT: 0
	.section	.text._ZN2at6native12_GLOBAL__N_132sampleMultinomialWithReplacementIfEEvNS_15PhiloxCudaStateEiPlliPKT_S7_,"axG",@progbits,_ZN2at6native12_GLOBAL__N_132sampleMultinomialWithReplacementIfEEvNS_15PhiloxCudaStateEiPlliPKT_S7_,comdat
	.globl	_ZN2at6native12_GLOBAL__N_132sampleMultinomialWithReplacementIfEEvNS_15PhiloxCudaStateEiPlliPKT_S7_ ; -- Begin function _ZN2at6native12_GLOBAL__N_132sampleMultinomialWithReplacementIfEEvNS_15PhiloxCudaStateEiPlliPKT_S7_
	.p2align	8
	.type	_ZN2at6native12_GLOBAL__N_132sampleMultinomialWithReplacementIfEEvNS_15PhiloxCudaStateEiPlliPKT_S7_,@function
_ZN2at6native12_GLOBAL__N_132sampleMultinomialWithReplacementIfEEvNS_15PhiloxCudaStateEiPlliPKT_S7_: ; @_ZN2at6native12_GLOBAL__N_132sampleMultinomialWithReplacementIfEEvNS_15PhiloxCudaStateEiPlliPKT_S7_
; %bb.0:
	s_mov_b32 s16, s7
	s_load_dword s7, s[4:5], 0x18
	s_load_dwordx4 s[0:3], s[4:5], 0x0
	s_mov_b32 s17, 0
	s_waitcnt lgkmcnt(0)
	s_bitcmp0_b32 s7, 0
	v_pk_mov_b32 v[6:7], s[2:3], s[2:3] op_sel:[0,1]
	v_pk_mov_b32 v[2:3], s[0:1], s[0:1] op_sel:[0,1]
	s_cbranch_scc1 .LBB7_2
; %bb.1:
	v_pk_mov_b32 v[2:3], s[2:3], s[2:3] op_sel:[0,1]
	flat_load_dwordx2 v[4:5], v[2:3]
	v_pk_mov_b32 v[2:3], s[0:1], s[0:1] op_sel:[0,1]
	flat_load_dwordx2 v[2:3], v[2:3]
	s_load_dwordx2 s[0:1], s[4:5], 0x10
	s_waitcnt lgkmcnt(0)
	v_mov_b32_e32 v1, s1
	s_waitcnt vmcnt(0)
	v_add_co_u32_e32 v6, vcc, s0, v4
	v_addc_co_u32_e32 v7, vcc, v5, v1, vcc
.LBB7_2:
	s_load_dwordx4 s[8:11], s[4:5], 0x28
	s_waitcnt lgkmcnt(0)
	v_pk_mov_b32 v[4:5], s[10:11], s[10:11] op_sel:[0,1]
	v_cmp_ge_i64_e32 vcc, s[16:17], v[4:5]
	s_cbranch_vccnz .LBB7_36
; %bb.3:
	v_mov_b32_e32 v4, v3
	s_mov_b32 s0, 0xdb3d7428
	v_add_co_u32_e32 v15, vcc, s0, v4
	s_mov_b32 s0, 0x5384540f
	v_add_co_u32_e32 v16, vcc, s0, v2
	;; [unrolled: 2-line block ×6, first 2 shown]
	s_mov_b32 s0, 0x76cf5d0a
	s_load_dword s33, s[4:5], 0x20
	s_load_dword s18, s[4:5], 0x38
	v_add_co_u32_e32 v21, vcc, s0, v4
	s_mov_b32 s0, 0x9e3779b9
	v_alignbit_b32 v23, v7, v6, 2
	s_mov_b32 s44, 0xd2511f53
	s_load_dwordx4 s[12:15], s[4:5], 0x40
	s_load_dword s48, s[4:5], 0x50
	v_add_co_u32_e32 v22, vcc, s0, v2
	v_mad_u64_u32 v[8:9], s[0:1], v23, s44, 0
	s_load_dword s0, s[4:5], 0x5c
	s_waitcnt lgkmcnt(0)
	s_ashr_i32 s19, s18, 31
	s_add_u32 s4, s4, 0x50
	s_mul_i32 s1, s48, s16
	s_addc_u32 s5, s5, 0
	s_add_i32 s1, s1, s6
	s_and_b32 s2, s0, 0xffff
	s_mul_i32 s1, s1, s2
	v_add_u32_e32 v24, s1, v0
	v_xor_b32_e32 v5, v9, v3
	v_ashrrev_i32_e32 v25, 31, v24
	v_xor_b32_e32 v5, v5, v25
	s_mov_b32 s45, 0xcd9e8d57
	v_mad_u64_u32 v[10:11], s[0:1], v5, s45, 0
	v_xor_b32_e32 v5, v22, v11
	v_mad_u64_u32 v[26:27], s[0:1], v24, s45, 0
	v_and_b32_e32 v12, 3, v6
	v_xor_b32_e32 v5, v5, v26
	v_xor_b32_e32 v6, v2, v27
	v_lshrrev_b32_e32 v27, 2, v7
	v_mad_u64_u32 v[30:31], s[0:1], v5, s44, 0
	v_xor_b32_e32 v6, v6, v27
	v_xor_b32_e32 v5, v21, v31
	v_mad_u64_u32 v[6:7], s[0:1], v6, s44, 0
	v_xor_b32_e32 v5, v5, v6
	v_mad_u64_u32 v[32:33], s[0:1], v5, s45, 0
	s_mov_b32 s0, 0xbb67ae85
	v_add_co_u32_e32 v26, vcc, s0, v4
	v_xor_b32_e32 v6, v26, v7
	v_xor_b32_e32 v6, v6, v8
	v_xor_b32_e32 v5, v20, v33
	v_mad_u64_u32 v[6:7], s[0:1], v6, s45, 0
	v_xor_b32_e32 v5, v5, v6
	v_mad_u64_u32 v[8:9], s[0:1], v5, s44, 0
	s_mov_b32 s0, 0x3c6ef372
	v_add_co_u32_e32 v28, vcc, s0, v2
	v_xor_b32_e32 v6, v28, v7
	;; [unrolled: 8-line block ×7, first 2 shown]
	v_xor_b32_e32 v4, v4, v34
	v_mad_u64_u32 v[4:5], s[0:1], v4, s45, 0
	s_mov_b32 s0, 0xf1bbcdc8
	v_add_u32_e32 v13, 0x8ff34781, v2
	v_xor_b32_e32 v4, v7, v4
	v_add_co_u32_e32 v34, vcc, s0, v2
	v_xor_b32_e32 v7, v13, v4
	v_xor_b32_e32 v4, v34, v5
	v_xor_b32_e32 v4, v4, v36
	v_mad_u64_u32 v[4:5], s[0:1], v4, s44, 0
	s_mul_i32 s6, s6, s2
	v_add_u32_e32 v14, 0x96a522ad, v3
	v_xor_b32_e32 v5, v5, v8
	v_add_u32_e32 v35, s6, v0
	v_mov_b32_e32 v1, 0
	s_mov_b64 s[20:21], 0
	v_cmp_gt_i64_e64 s[22:23], s[18:19], 0
	v_xor_b32_e32 v5, v14, v5
	v_cmp_gt_i32_e64 s[0:1], s33, v35
	s_add_i32 s46, s18, -1
	s_ashr_i32 s47, s33, 31
	s_mul_i32 s48, s48, s2
	s_lshl_b64 s[6:7], s[18:19], 2
                                        ; implicit-def: $sgpr24_sgpr25
                                        ; implicit-def: $sgpr26_sgpr27
	s_branch .LBB7_5
.LBB7_4:                                ;   in Loop: Header=BB7_5 Depth=1
	s_or_b64 exec, exec, s[30:31]
	s_and_b64 s[2:3], exec, s[28:29]
	s_or_b64 s[20:21], s[2:3], s[20:21]
	s_andn2_b64 s[2:3], s[24:25], exec
	s_and_b64 s[24:25], s[26:27], exec
	s_or_b64 s[24:25], s[2:3], s[24:25]
	s_andn2_b64 exec, exec, s[20:21]
	s_cbranch_execz .LBB7_35
.LBB7_5:                                ; =>This Loop Header: Depth=1
                                        ;     Child Loop BB7_9 Depth 2
                                        ;       Child Loop BB7_22 Depth 3
                                        ;       Child Loop BB7_28 Depth 3
	s_mov_b64 s[2:3], -1
                                        ; implicit-def: $sgpr34_sgpr35
	s_and_saveexec_b64 s[28:29], s[0:1]
	s_cbranch_execz .LBB7_33
; %bb.6:                                ;   in Loop: Header=BB7_5 Depth=1
	s_mul_i32 s2, s16, s19
	s_mul_hi_u32 s3, s16, s18
	s_add_i32 s2, s3, s2
	s_mul_i32 s3, s17, s18
	s_add_i32 s3, s2, s3
	s_mul_i32 s2, s16, s18
	s_lshl_b64 s[2:3], s[2:3], 2
	s_add_u32 s49, s12, s2
	s_addc_u32 s50, s13, s3
	s_add_u32 s51, s49, s6
	s_mul_i32 s2, s16, s47
	s_mul_hi_u32 s3, s16, s33
	s_addc_u32 s52, s50, s7
	s_add_i32 s2, s3, s2
	s_mul_i32 s3, s17, s33
	s_add_i32 s3, s2, s3
	s_mul_i32 s2, s16, s33
	s_lshl_b64 s[2:3], s[2:3], 3
	s_add_u32 s53, s8, s2
	s_addc_u32 s54, s9, s3
	s_mul_i32 s2, s6, s17
	s_mul_hi_u32 s3, s6, s16
	s_add_i32 s2, s3, s2
	s_mul_i32 s3, s7, s16
	s_add_i32 s2, s2, s3
	s_mul_i32 s3, s6, s16
	s_add_u32 s55, s14, s3
	s_addc_u32 s56, s15, s2
	s_mov_b64 s[34:35], 0
	v_mov_b32_e32 v8, v35
                                        ; implicit-def: $sgpr30_sgpr31
                                        ; implicit-def: $sgpr36_sgpr37
	s_branch .LBB7_9
.LBB7_7:                                ;   in Loop: Header=BB7_9 Depth=2
	s_mov_b64 s[2:3], -1
	s_mov_b64 s[38:39], -1
                                        ; implicit-def: $vgpr8
                                        ; implicit-def: $vgpr7
                                        ; implicit-def: $vgpr6
                                        ; implicit-def: $vgpr5
                                        ; implicit-def: $vgpr4
                                        ; implicit-def: $vgpr23
                                        ; implicit-def: $vgpr27
                                        ; implicit-def: $vgpr24
                                        ; implicit-def: $vgpr25
.LBB7_8:                                ;   in Loop: Header=BB7_9 Depth=2
	s_xor_b64 s[38:39], s[38:39], -1
	s_and_b64 s[40:41], exec, s[2:3]
	s_or_b64 s[34:35], s[40:41], s[34:35]
	s_andn2_b64 s[36:37], s[36:37], exec
	s_and_b64 s[2:3], s[2:3], exec
	s_or_b64 s[36:37], s[36:37], s[2:3]
	s_andn2_b64 s[2:3], s[30:31], exec
	s_and_b64 s[30:31], s[38:39], exec
	s_or_b64 s[30:31], s[2:3], s[30:31]
	s_andn2_b64 exec, exec, s[34:35]
	s_cbranch_execz .LBB7_32
.LBB7_9:                                ;   Parent Loop BB7_5 Depth=1
                                        ; =>  This Loop Header: Depth=2
                                        ;       Child Loop BB7_22 Depth 3
                                        ;       Child Loop BB7_28 Depth 3
	v_add_co_u32_e32 v23, vcc, 1, v23
	v_cndmask_b32_e64 v0, 0, 1, vcc
	v_addc_co_u32_e32 v27, vcc, 0, v27, vcc
	v_cmp_eq_u32_e32 vcc, 0, v27
	v_cndmask_b32_e32 v9, 0, v0, vcc
	v_add_u32_e32 v24, v9, v24
	v_cmp_eq_u32_e64 s[2:3], 0, v24
	v_cmp_lt_i32_e32 vcc, 1, v12
	s_and_saveexec_b64 s[38:39], vcc
	s_xor_b64 s[38:39], exec, s[38:39]
	s_cbranch_execz .LBB7_15
; %bb.10:                               ;   in Loop: Header=BB7_9 Depth=2
	v_cmp_lt_i32_e32 vcc, 2, v12
	s_and_saveexec_b64 s[40:41], vcc
	s_xor_b64 s[40:41], exec, s[40:41]
; %bb.11:                               ;   in Loop: Header=BB7_9 Depth=2
                                        ; implicit-def: $vgpr5
; %bb.12:                               ;   in Loop: Header=BB7_9 Depth=2
	s_andn2_saveexec_b64 s[40:41], s[40:41]
; %bb.13:                               ;   in Loop: Header=BB7_9 Depth=2
	v_mov_b32_e32 v4, v5
; %bb.14:                               ;   in Loop: Header=BB7_9 Depth=2
	s_or_b64 exec, exec, s[40:41]
                                        ; implicit-def: $vgpr7
                                        ; implicit-def: $vgpr6
.LBB7_15:                               ;   in Loop: Header=BB7_9 Depth=2
	s_andn2_saveexec_b64 s[38:39], s[38:39]
	s_cbranch_execz .LBB7_19
; %bb.16:                               ;   in Loop: Header=BB7_9 Depth=2
	v_cmp_eq_u32_e32 vcc, 1, v12
	s_and_saveexec_b64 s[40:41], vcc
; %bb.17:                               ;   in Loop: Header=BB7_9 Depth=2
	v_mov_b32_e32 v7, v6
; %bb.18:                               ;   in Loop: Header=BB7_9 Depth=2
	s_or_b64 exec, exec, s[40:41]
	v_mov_b32_e32 v4, v7
.LBB7_19:                               ;   in Loop: Header=BB7_9 Depth=2
	s_or_b64 exec, exec, s[38:39]
	s_add_u32 s38, s51, -4
	s_addc_u32 s39, s52, -1
	s_load_dword s38, s[38:39], 0x0
	s_waitcnt lgkmcnt(0)
	v_cmp_ngt_f32_e64 s[38:39], s38, 0
	s_and_b64 vcc, exec, s[38:39]
	s_cbranch_vccnz .LBB7_7
; %bb.20:                               ;   in Loop: Header=BB7_9 Depth=2
	s_andn2_b64 vcc, exec, s[22:23]
	s_cbranch_vccnz .LBB7_24
; %bb.21:                               ;   in Loop: Header=BB7_9 Depth=2
	v_cvt_f32_u32_e32 v5, v4
	v_mov_b32_e32 v4, 0x2f800000
	s_mov_b64 s[38:39], 0
	v_mov_b32_e32 v0, s18
	v_fmac_f32_e32 v4, 0x2f800000, v5
	v_mov_b32_e32 v10, 0
	v_mov_b32_e32 v5, s18
.LBB7_22:                               ;   Parent Loop BB7_5 Depth=1
                                        ;     Parent Loop BB7_9 Depth=2
                                        ; =>    This Inner Loop Header: Depth=3
	v_lshrrev_b32_e32 v0, 1, v0
	v_add_u32_e32 v0, v0, v10
	v_lshlrev_b64 v[6:7], 2, v[0:1]
	v_mov_b32_e32 v11, s50
	v_add_co_u32_e32 v6, vcc, s49, v6
	v_addc_co_u32_e32 v7, vcc, v11, v7, vcc
	global_load_dword v6, v[6:7], off
	v_add_u32_e32 v7, 1, v0
	s_waitcnt vmcnt(0)
	v_cmp_lt_f32_e32 vcc, v6, v4
	v_cndmask_b32_e32 v5, v0, v5, vcc
	v_cndmask_b32_e32 v10, v10, v7, vcc
	v_sub_u32_e32 v0, v5, v10
	v_cmp_gt_i32_e32 vcc, 1, v0
	s_or_b64 s[38:39], vcc, s[38:39]
	s_andn2_b64 exec, exec, s[38:39]
	s_cbranch_execnz .LBB7_22
; %bb.23:                               ;   in Loop: Header=BB7_9 Depth=2
	s_or_b64 exec, exec, s[38:39]
	s_branch .LBB7_25
.LBB7_24:                               ;   in Loop: Header=BB7_9 Depth=2
	v_mov_b32_e32 v10, 0
.LBB7_25:                               ;   in Loop: Header=BB7_9 Depth=2
	v_cndmask_b32_e64 v0, 0, v9, s[2:3]
	v_mad_u64_u32 v[4:5], s[2:3], v23, s44, 0
	v_add_u32_e32 v25, v0, v25
	v_mad_u64_u32 v[6:7], s[2:3], v24, s45, 0
	v_xor_b32_e32 v5, v5, v3
	v_xor_b32_e32 v0, v7, v2
	v_xor_b32_e32 v5, v25, v5
	v_xor_b32_e32 v0, v27, v0
	v_mad_u64_u32 v[38:39], s[2:3], v5, s45, 0
	v_mad_u64_u32 v[36:37], s[2:3], v0, s44, 0
	v_xor_b32_e32 v0, v22, v39
	v_xor_b32_e32 v0, v0, v6
	v_xor_b32_e32 v5, v26, v37
	v_xor_b32_e32 v6, v5, v4
	v_mad_u64_u32 v[4:5], s[2:3], v0, s44, 0
	;; [unrolled: 6-line block ×9, first 2 shown]
	v_mad_u64_u32 v[4:5], s[2:3], v0, s44, 0
	v_xor_b32_e32 v0, v7, v42
	v_xor_b32_e32 v7, v13, v0
	;; [unrolled: 1-line block ×4, first 2 shown]
	v_mov_b32_e32 v0, s46
	v_cmp_eq_u32_e32 vcc, s18, v10
	v_cndmask_b32_e32 v0, v10, v0, vcc
	v_cmp_lt_i32_e32 vcc, 0, v0
	s_and_saveexec_b64 s[2:3], vcc
	s_cbranch_execz .LBB7_31
; %bb.26:                               ;   in Loop: Header=BB7_9 Depth=2
	v_lshlrev_b64 v[10:11], 2, v[0:1]
	v_mov_b32_e32 v9, s56
	v_add_co_u32_e32 v10, vcc, s55, v10
	v_addc_co_u32_e32 v11, vcc, v9, v11, vcc
	s_mov_b64 s[38:39], 0
                                        ; implicit-def: $sgpr40_sgpr41
	s_branch .LBB7_28
.LBB7_27:                               ;   in Loop: Header=BB7_28 Depth=3
	s_or_b64 exec, exec, s[42:43]
	s_and_b64 s[42:43], exec, s[40:41]
	v_mov_b32_e32 v36, v0
	s_or_b64 s[38:39], s[42:43], s[38:39]
	v_mov_b32_e32 v0, v9
	s_andn2_b64 exec, exec, s[38:39]
	s_cbranch_execz .LBB7_30
.LBB7_28:                               ;   Parent Loop BB7_5 Depth=1
                                        ;     Parent Loop BB7_9 Depth=2
                                        ; =>    This Inner Loop Header: Depth=3
	global_load_dword v9, v[10:11], off
	s_or_b64 s[40:41], s[40:41], exec
	s_waitcnt vmcnt(0)
	v_cmp_eq_f32_e32 vcc, 0, v9
                                        ; implicit-def: $vgpr9
	s_and_saveexec_b64 s[42:43], vcc
	s_cbranch_execz .LBB7_27
; %bb.29:                               ;   in Loop: Header=BB7_28 Depth=3
	v_add_co_u32_e32 v10, vcc, -4, v10
	v_addc_co_u32_e32 v11, vcc, -1, v11, vcc
	v_cmp_gt_u32_e32 vcc, 2, v0
	s_andn2_b64 s[40:41], s[40:41], exec
	s_and_b64 s[58:59], vcc, exec
	v_add_u32_e32 v9, -1, v0
	v_mov_b32_e32 v0, 0
	s_or_b64 s[40:41], s[40:41], s[58:59]
	s_branch .LBB7_27
.LBB7_30:                               ;   in Loop: Header=BB7_9 Depth=2
	s_or_b64 exec, exec, s[38:39]
	v_mov_b32_e32 v0, v36
.LBB7_31:                               ;   in Loop: Header=BB7_9 Depth=2
	s_or_b64 exec, exec, s[2:3]
	v_ashrrev_i32_e32 v9, 31, v8
	v_lshlrev_b64 v[36:37], 3, v[8:9]
	v_ashrrev_i32_e32 v11, 31, v0
	v_mov_b32_e32 v10, v0
	v_mov_b32_e32 v0, s54
	v_add_co_u32_e32 v36, vcc, s53, v36
	v_addc_co_u32_e32 v37, vcc, v0, v37, vcc
	v_add_u32_e32 v8, s48, v8
	global_store_dwordx2 v[36:37], v[10:11], off
	v_cmp_le_i32_e64 s[2:3], s33, v8
	s_mov_b64 s[38:39], 0
	s_branch .LBB7_8
.LBB7_32:                               ;   in Loop: Header=BB7_5 Depth=1
	s_or_b64 exec, exec, s[34:35]
	s_and_b64 s[34:35], s[36:37], exec
	s_orn2_b64 s[2:3], s[30:31], exec
.LBB7_33:                               ;   in Loop: Header=BB7_5 Depth=1
	s_or_b64 exec, exec, s[28:29]
	s_andn2_b64 s[26:27], s[26:27], exec
	s_and_b64 s[30:31], s[34:35], exec
	s_mov_b64 s[28:29], -1
	s_or_b64 s[26:27], s[26:27], s[30:31]
	s_and_saveexec_b64 s[30:31], s[2:3]
	s_cbranch_execz .LBB7_4
; %bb.34:                               ;   in Loop: Header=BB7_5 Depth=1
	s_load_dword s2, s[4:5], 0x4
	v_pk_mov_b32 v[8:9], s[10:11], s[10:11] op_sel:[0,1]
	s_waitcnt lgkmcnt(0)
	s_add_u32 s16, s16, s2
	s_addc_u32 s17, s17, 0
	v_cmp_ge_i64_e32 vcc, s[16:17], v[8:9]
	s_andn2_b64 s[26:27], s[26:27], exec
	s_orn2_b64 s[28:29], vcc, exec
	s_branch .LBB7_4
.LBB7_35:
	s_or_b64 exec, exec, s[20:21]
	s_and_saveexec_b64 s[0:1], s[24:25]
	s_xor_b64 s[0:1], exec, s[0:1]
	s_cbranch_execnz .LBB7_37
.LBB7_36:
	s_endpgm
.LBB7_37:
	s_trap 2
	; divergent unreachable
	s_endpgm
	.section	.rodata,"a",@progbits
	.p2align	6, 0x0
	.amdhsa_kernel _ZN2at6native12_GLOBAL__N_132sampleMultinomialWithReplacementIfEEvNS_15PhiloxCudaStateEiPlliPKT_S7_
		.amdhsa_group_segment_fixed_size 0
		.amdhsa_private_segment_fixed_size 0
		.amdhsa_kernarg_size 336
		.amdhsa_user_sgpr_count 6
		.amdhsa_user_sgpr_private_segment_buffer 1
		.amdhsa_user_sgpr_dispatch_ptr 0
		.amdhsa_user_sgpr_queue_ptr 0
		.amdhsa_user_sgpr_kernarg_segment_ptr 1
		.amdhsa_user_sgpr_dispatch_id 0
		.amdhsa_user_sgpr_flat_scratch_init 0
		.amdhsa_user_sgpr_kernarg_preload_length 0
		.amdhsa_user_sgpr_kernarg_preload_offset 0
		.amdhsa_user_sgpr_private_segment_size 0
		.amdhsa_uses_dynamic_stack 0
		.amdhsa_system_sgpr_private_segment_wavefront_offset 0
		.amdhsa_system_sgpr_workgroup_id_x 1
		.amdhsa_system_sgpr_workgroup_id_y 1
		.amdhsa_system_sgpr_workgroup_id_z 0
		.amdhsa_system_sgpr_workgroup_info 0
		.amdhsa_system_vgpr_workitem_id 0
		.amdhsa_next_free_vgpr 44
		.amdhsa_next_free_sgpr 60
		.amdhsa_accum_offset 44
		.amdhsa_reserve_vcc 1
		.amdhsa_reserve_flat_scratch 0
		.amdhsa_float_round_mode_32 0
		.amdhsa_float_round_mode_16_64 0
		.amdhsa_float_denorm_mode_32 3
		.amdhsa_float_denorm_mode_16_64 3
		.amdhsa_dx10_clamp 1
		.amdhsa_ieee_mode 1
		.amdhsa_fp16_overflow 0
		.amdhsa_tg_split 0
		.amdhsa_exception_fp_ieee_invalid_op 0
		.amdhsa_exception_fp_denorm_src 0
		.amdhsa_exception_fp_ieee_div_zero 0
		.amdhsa_exception_fp_ieee_overflow 0
		.amdhsa_exception_fp_ieee_underflow 0
		.amdhsa_exception_fp_ieee_inexact 0
		.amdhsa_exception_int_div_zero 0
	.end_amdhsa_kernel
	.section	.text._ZN2at6native12_GLOBAL__N_132sampleMultinomialWithReplacementIfEEvNS_15PhiloxCudaStateEiPlliPKT_S7_,"axG",@progbits,_ZN2at6native12_GLOBAL__N_132sampleMultinomialWithReplacementIfEEvNS_15PhiloxCudaStateEiPlliPKT_S7_,comdat
.Lfunc_end7:
	.size	_ZN2at6native12_GLOBAL__N_132sampleMultinomialWithReplacementIfEEvNS_15PhiloxCudaStateEiPlliPKT_S7_, .Lfunc_end7-_ZN2at6native12_GLOBAL__N_132sampleMultinomialWithReplacementIfEEvNS_15PhiloxCudaStateEiPlliPKT_S7_
                                        ; -- End function
	.section	.AMDGPU.csdata,"",@progbits
; Kernel info:
; codeLenInByte = 2000
; NumSgprs: 64
; NumVgprs: 44
; NumAgprs: 0
; TotalNumVgprs: 44
; ScratchSize: 0
; MemoryBound: 0
; FloatMode: 240
; IeeeMode: 1
; LDSByteSize: 0 bytes/workgroup (compile time only)
; SGPRBlocks: 7
; VGPRBlocks: 5
; NumSGPRsForWavesPerEU: 64
; NumVGPRsForWavesPerEU: 44
; AccumOffset: 44
; Occupancy: 8
; WaveLimiterHint : 0
; COMPUTE_PGM_RSRC2:SCRATCH_EN: 0
; COMPUTE_PGM_RSRC2:USER_SGPR: 6
; COMPUTE_PGM_RSRC2:TRAP_HANDLER: 0
; COMPUTE_PGM_RSRC2:TGID_X_EN: 1
; COMPUTE_PGM_RSRC2:TGID_Y_EN: 1
; COMPUTE_PGM_RSRC2:TGID_Z_EN: 0
; COMPUTE_PGM_RSRC2:TIDIG_COMP_CNT: 0
; COMPUTE_PGM_RSRC3_GFX90A:ACCUM_OFFSET: 10
; COMPUTE_PGM_RSRC3_GFX90A:TG_SPLIT: 0
	.section	.text._ZN2at6native12_GLOBAL__N_121sampleMultinomialOnceIN3c104HalfEfEEvPlliPKT_S8_ii,"axG",@progbits,_ZN2at6native12_GLOBAL__N_121sampleMultinomialOnceIN3c104HalfEfEEvPlliPKT_S8_ii,comdat
	.globl	_ZN2at6native12_GLOBAL__N_121sampleMultinomialOnceIN3c104HalfEfEEvPlliPKT_S8_ii ; -- Begin function _ZN2at6native12_GLOBAL__N_121sampleMultinomialOnceIN3c104HalfEfEEvPlliPKT_S8_ii
	.p2align	8
	.type	_ZN2at6native12_GLOBAL__N_121sampleMultinomialOnceIN3c104HalfEfEEvPlliPKT_S8_ii,@function
_ZN2at6native12_GLOBAL__N_121sampleMultinomialOnceIN3c104HalfEfEEvPlliPKT_S8_ii: ; @_ZN2at6native12_GLOBAL__N_121sampleMultinomialOnceIN3c104HalfEfEEvPlliPKT_S8_ii
; %bb.0:
	s_load_dwordx4 s[80:83], s[4:5], 0x0
	s_mov_b32 s7, 0
	s_waitcnt lgkmcnt(0)
	v_pk_mov_b32 v[2:3], s[82:83], s[82:83] op_sel:[0,1]
	v_cmp_ge_i64_e32 vcc, s[6:7], v[2:3]
	s_cbranch_vccnz .LBB8_89
; %bb.1:
	s_load_dword s33, s[4:5], 0x10
	s_load_dwordx2 s[14:15], s[4:5], 0x28
	s_load_dwordx4 s[20:23], s[4:5], 0x18
	v_lshlrev_b32_e32 v2, 2, v0
	v_lshrrev_b32_e32 v4, 4, v0
	v_add_u32_e32 v8, 8, v2
	s_waitcnt lgkmcnt(0)
	s_ashr_i32 s16, s14, 31
	s_add_u32 s26, s4, 48
	v_add3_u32 v9, 8, -4, v2
	v_mul_lo_u32 v2, v0, s15
	s_addc_u32 s27, s5, 0
	v_and_b32_e32 v1, 63, v0
	s_add_i32 s12, s33, -1
	v_ashrrev_i32_e32 v3, 31, v2
                                        ; implicit-def: $vgpr22 : SGPR spill to VGPR lane
	v_add_u32_e32 v10, 8, v4
	v_mbcnt_lo_u32_b32 v4, -1, 0
	v_cmp_gt_i32_e64 s[0:1], s33, v0
	v_cmp_eq_u32_e64 s[2:3], 0, v1
	v_lshl_add_u32 v1, v1, 2, 8
	v_cmp_gt_u32_e64 s[4:5], 64, v0
	v_cmp_eq_u32_e64 s[8:9], 0, v0
	v_cmp_ne_u32_e64 s[10:11], 0, v0
	v_writelane_b32 v22, s12, 0
	s_mul_i32 s12, s15, s12
	s_mov_b64 s[28:29], 0
	v_lshlrev_b64 v[2:3], 1, v[2:3]
	s_movk_i32 s19, 0x7c00
	v_mov_b32_e32 v5, 0
	v_mbcnt_hi_u32_b32 v11, -1, v4
	v_mov_b32_e32 v12, 8
	v_mov_b32_e32 v13, 1
	v_writelane_b32 v22, s12, 1
                                        ; implicit-def: $sgpr30_sgpr31
                                        ; implicit-def: $sgpr34_sgpr35
                                        ; implicit-def: $sgpr36_sgpr37
                                        ; implicit-def: $sgpr38_sgpr39
                                        ; implicit-def: $sgpr24_sgpr25
                                        ; implicit-def: $sgpr40_sgpr41
                                        ; implicit-def: $sgpr42_sgpr43
                                        ; implicit-def: $sgpr46_sgpr47
                                        ; implicit-def: $sgpr44_sgpr45
                                        ; implicit-def: $sgpr48_sgpr49
                                        ; implicit-def: $vgpr14
	s_branch .LBB8_5
.LBB8_2:                                ;   in Loop: Header=BB8_5 Depth=1
	s_or_b64 exec, exec, s[12:13]
	s_add_u32 s6, s6, s72
	s_addc_u32 s7, s7, 0
	v_pk_mov_b32 v[6:7], s[82:83], s[82:83] op_sel:[0,1]
	v_cmp_ge_i64_e32 vcc, s[6:7], v[6:7]
	s_andn2_b64 s[56:57], s[56:57], exec
	s_andn2_b64 s[54:55], s[54:55], exec
	;; [unrolled: 1-line block ×5, first 2 shown]
	s_orn2_b64 s[12:13], vcc, exec
.LBB8_3:                                ;   in Loop: Header=BB8_5 Depth=1
	s_or_b64 exec, exec, s[62:63]
	s_andn2_b64 s[46:47], s[46:47], exec
	s_and_b64 s[52:53], s[52:53], exec
	s_or_b64 s[46:47], s[46:47], s[52:53]
	s_andn2_b64 s[42:43], s[42:43], exec
	s_and_b64 s[52:53], s[60:61], exec
	s_andn2_b64 s[48:49], s[48:49], exec
	s_and_b64 s[56:57], s[56:57], exec
	;; [unrolled: 2-line block ×3, first 2 shown]
	s_or_b64 s[42:43], s[42:43], s[52:53]
	s_andn2_b64 s[40:41], s[40:41], exec
	s_and_b64 s[52:53], s[58:59], exec
	s_or_b64 s[48:49], s[48:49], s[56:57]
	s_or_b64 s[44:45], s[44:45], s[54:55]
	;; [unrolled: 1-line block ×3, first 2 shown]
	s_orn2_b64 s[12:13], s[12:13], exec
.LBB8_4:                                ;   in Loop: Header=BB8_5 Depth=1
	s_or_b64 exec, exec, s[50:51]
	s_and_b64 s[12:13], exec, s[12:13]
	s_or_b64 s[28:29], s[12:13], s[28:29]
	s_andn2_b64 s[12:13], s[24:25], exec
	s_and_b64 s[24:25], s[48:49], exec
	s_or_b64 s[24:25], s[12:13], s[24:25]
	s_andn2_b64 s[12:13], s[38:39], exec
	s_and_b64 s[38:39], s[44:45], exec
	;; [unrolled: 3-line block ×5, first 2 shown]
	s_or_b64 s[30:31], s[12:13], s[30:31]
	s_andn2_b64 exec, exec, s[28:29]
	s_cbranch_execz .LBB8_74
.LBB8_5:                                ; =>This Loop Header: Depth=1
                                        ;     Child Loop BB8_14 Depth 2
                                        ;     Child Loop BB8_42 Depth 2
                                        ;       Child Loop BB8_47 Depth 3
                                        ;       Child Loop BB8_56 Depth 3
                                        ;     Child Loop BB8_63 Depth 2
	s_mov_b64 s[52:53], -1
	s_waitcnt lgkmcnt(0)
	v_mov_b32_e32 v4, 0
                                        ; implicit-def: $sgpr50_sgpr51
                                        ; implicit-def: $sgpr54_sgpr55
                                        ; implicit-def: $sgpr58_sgpr59
                                        ; implicit-def: $sgpr60_sgpr61
	s_and_saveexec_b64 s[12:13], s[0:1]
	s_cbranch_execz .LBB8_23
; %bb.6:                                ;   in Loop: Header=BB8_5 Depth=1
	s_mul_i32 s17, s6, s16
	s_mul_hi_u32 s18, s6, s14
	s_add_i32 s17, s18, s17
	s_mul_i32 s18, s7, s14
	s_add_i32 s51, s17, s18
	s_mul_i32 s50, s6, s14
	s_lshl_b64 s[50:51], s[50:51], 1
	s_add_u32 s18, s22, s50
	s_addc_u32 s72, s23, s51
	v_mov_b32_e32 v4, s72
	v_add_co_u32_e32 v6, vcc, s18, v2
	v_addc_co_u32_e32 v7, vcc, v4, v3, vcc
	global_load_ushort v14, v[6:7], off
	s_mov_b64 s[56:57], -1
	s_mov_b64 s[52:53], 0
	v_mov_b32_e32 v4, 0
	s_mov_b64 s[54:55], 0
	s_mov_b64 s[62:63], 0
	;; [unrolled: 1-line block ×3, first 2 shown]
	s_waitcnt vmcnt(0)
	v_cmp_o_f16_e32 vcc, v14, v14
	s_and_saveexec_b64 s[50:51], vcc
	s_cbranch_execz .LBB8_22
; %bb.7:                                ;   in Loop: Header=BB8_5 Depth=1
	v_cmp_neq_f16_e64 s[60:61], |v14|, s19
	s_mov_b64 s[54:55], -1
	s_mov_b64 s[58:59], 0
	v_mov_b32_e32 v4, 0
	s_mov_b64 s[56:57], 0
	s_mov_b64 s[64:65], 0
	s_mov_b64 s[66:67], 0
	s_and_saveexec_b64 s[52:53], s[60:61]
	s_cbranch_execz .LBB8_21
; %bb.8:                                ;   in Loop: Header=BB8_5 Depth=1
	v_cmp_ngt_f16_e32 vcc, 0, v14
	s_mov_b64 s[56:57], -1
	v_mov_b32_e32 v4, 0
	s_mov_b64 s[60:61], 0
	s_and_saveexec_b64 s[54:55], vcc
	s_cbranch_execz .LBB8_20
; %bb.9:                                ;   in Loop: Header=BB8_5 Depth=1
	s_load_dword s17, s[26:27], 0xc
	v_cvt_f32_f16_e32 v4, v14
	s_mov_b64 s[58:59], -1
	s_mov_b64 s[68:69], -1
	s_mov_b64 s[70:71], 0
	s_waitcnt lgkmcnt(0)
	s_and_b32 s17, s17, 0xffff
	v_add_u32_e32 v15, s17, v0
	v_add_f32_e32 v4, 0, v4
	v_cmp_gt_i32_e32 vcc, s33, v15
	s_and_saveexec_b64 s[56:57], vcc
	s_cbranch_execz .LBB8_19
; %bb.10:                               ;   in Loop: Header=BB8_5 Depth=1
	v_writelane_b32 v22, s80, 2
	v_writelane_b32 v22, s81, 3
	;; [unrolled: 1-line block ×3, first 2 shown]
	v_mul_lo_u32 v6, s15, v15
	v_mov_b32_e32 v16, s72
	v_writelane_b32 v22, s83, 5
                                        ; implicit-def: $sgpr58_sgpr59
                                        ; implicit-def: $sgpr68_sgpr69
                                        ; implicit-def: $sgpr66_sgpr67
                                        ; implicit-def: $sgpr64_sgpr65
                                        ; implicit-def: $sgpr62_sgpr63
                                        ; implicit-def: $sgpr72_sgpr73
                                        ; implicit-def: $sgpr70_sgpr71
                                        ; implicit-def: $sgpr74_sgpr75
                                        ; implicit-def: $sgpr76_sgpr77
                                        ; implicit-def: $sgpr78_sgpr79
                                        ; implicit-def: $sgpr80_sgpr81
	s_branch .LBB8_14
.LBB8_11:                               ;   in Loop: Header=BB8_14 Depth=2
	s_or_b64 exec, exec, s[88:89]
	s_mov_b64 s[88:89], exec
	s_orn2_b64 s[94:95], s[92:93], exec
	s_xor_b64 s[92:93], exec, -1
	s_orn2_b64 s[90:91], s[90:91], exec
.LBB8_12:                               ;   in Loop: Header=BB8_14 Depth=2
	s_or_b64 exec, exec, s[86:87]
	s_andn2_b64 s[80:81], s[80:81], exec
	s_and_b64 s[86:87], s[94:95], exec
	s_or_b64 s[80:81], s[80:81], s[86:87]
	s_andn2_b64 s[78:79], s[78:79], exec
	s_and_b64 s[84:85], s[84:85], exec
	s_andn2_b64 s[76:77], s[76:77], exec
	s_and_b64 s[86:87], s[92:93], exec
	s_andn2_b64 s[70:71], s[70:71], exec
	s_or_b64 s[78:79], s[78:79], s[84:85]
	s_or_b64 s[76:77], s[76:77], s[86:87]
	s_andn2_b64 s[74:75], s[74:75], exec
	s_and_b64 s[86:87], s[88:89], exec
	s_or_b64 s[70:71], s[70:71], s[84:85]
	s_andn2_b64 s[72:73], s[72:73], exec
	s_and_b64 s[84:85], s[90:91], exec
	s_or_b64 s[74:75], s[74:75], s[86:87]
	s_or_b64 s[72:73], s[72:73], s[84:85]
.LBB8_13:                               ;   in Loop: Header=BB8_14 Depth=2
	s_or_b64 exec, exec, s[82:83]
	s_xor_b64 s[82:83], s[80:81], -1
	s_and_b64 s[84:85], exec, s[72:73]
	s_or_b64 s[60:61], s[84:85], s[60:61]
	s_andn2_b64 s[62:63], s[62:63], exec
	s_and_b64 s[84:85], s[78:79], exec
	s_or_b64 s[62:63], s[62:63], s[84:85]
	s_andn2_b64 s[64:65], s[64:65], exec
	s_and_b64 s[84:85], s[76:77], exec
	;; [unrolled: 3-line block ×4, first 2 shown]
	s_andn2_b64 s[58:59], s[58:59], exec
	s_and_b64 s[82:83], s[82:83], exec
	s_or_b64 s[68:69], s[68:69], s[84:85]
	s_or_b64 s[58:59], s[58:59], s[82:83]
	s_andn2_b64 exec, exec, s[60:61]
	s_cbranch_execz .LBB8_18
.LBB8_14:                               ;   Parent Loop BB8_5 Depth=1
                                        ; =>  This Inner Loop Header: Depth=2
	v_ashrrev_i32_e32 v7, 31, v6
	v_lshlrev_b64 v[18:19], 1, v[6:7]
	v_add_co_u32_e32 v18, vcc, s18, v18
	v_addc_co_u32_e32 v19, vcc, v16, v19, vcc
	global_load_ushort v14, v[18:19], off
	s_or_b64 s[80:81], s[80:81], exec
	s_or_b64 s[78:79], s[78:79], exec
	s_andn2_b64 s[76:77], s[76:77], exec
	s_andn2_b64 s[74:75], s[74:75], exec
	s_andn2_b64 s[70:71], s[70:71], exec
	s_or_b64 s[72:73], s[72:73], exec
	s_waitcnt vmcnt(0)
	v_cmp_o_f16_e32 vcc, v14, v14
	s_and_saveexec_b64 s[82:83], vcc
	s_cbranch_execz .LBB8_13
; %bb.15:                               ;   in Loop: Header=BB8_14 Depth=2
	v_cmp_neq_f16_e64 vcc, |v14|, s19
	s_mov_b64 s[84:85], 0
	s_mov_b64 s[90:91], -1
	s_mov_b64 s[88:89], 0
	s_mov_b64 s[92:93], -1
	s_mov_b64 s[94:95], -1
	s_and_saveexec_b64 s[86:87], vcc
	s_cbranch_execz .LBB8_12
; %bb.16:                               ;   in Loop: Header=BB8_14 Depth=2
	v_cmp_ngt_f16_e32 vcc, 0, v14
	s_and_saveexec_b64 s[88:89], vcc
	s_cbranch_execz .LBB8_11
; %bb.17:                               ;   in Loop: Header=BB8_14 Depth=2
	v_cvt_f32_f16_e32 v7, v14
	v_add_u32_e32 v15, s17, v15
	s_mul_i32 s90, s15, s17
	v_cmp_le_i32_e32 vcc, s33, v15
	v_add_u32_e32 v6, s90, v6
	v_add_f32_e32 v4, v4, v7
	s_xor_b64 s[92:93], exec, -1
	s_orn2_b64 s[90:91], vcc, exec
	s_branch .LBB8_11
.LBB8_18:                               ;   in Loop: Header=BB8_5 Depth=1
	s_or_b64 exec, exec, s[60:61]
	v_readlane_b32 s80, v22, 2
	s_and_b64 s[70:71], s[68:69], exec
	s_orn2_b64 s[68:69], s[66:67], exec
	s_and_b64 s[64:65], s[64:65], exec
	s_and_b64 s[60:61], s[62:63], exec
	s_orn2_b64 s[58:59], s[58:59], exec
	v_readlane_b32 s81, v22, 3
	v_readlane_b32 s82, v22, 4
	;; [unrolled: 1-line block ×3, first 2 shown]
.LBB8_19:                               ;   in Loop: Header=BB8_5 Depth=1
	s_or_b64 exec, exec, s[56:57]
	s_and_b64 s[66:67], s[70:71], exec
	s_orn2_b64 s[56:57], s[68:69], exec
	s_and_b64 s[62:63], s[64:65], exec
	s_and_b64 s[60:61], s[60:61], exec
	;; [unrolled: 1-line block ×3, first 2 shown]
.LBB8_20:                               ;   in Loop: Header=BB8_5 Depth=1
	s_or_b64 exec, exec, s[54:55]
	s_and_b64 s[66:67], s[66:67], exec
	s_and_b64 s[64:65], s[56:57], exec
	s_orn2_b64 s[54:55], s[62:63], exec
	s_and_b64 s[56:57], s[60:61], exec
	s_and_b64 s[58:59], s[58:59], exec
.LBB8_21:                               ;   in Loop: Header=BB8_5 Depth=1
	s_or_b64 exec, exec, s[52:53]
	s_and_b64 s[60:61], s[66:67], exec
	s_and_b64 s[62:63], s[64:65], exec
	;; [unrolled: 1-line block ×3, first 2 shown]
	s_orn2_b64 s[56:57], s[56:57], exec
	s_and_b64 s[52:53], s[58:59], exec
.LBB8_22:                               ;   in Loop: Header=BB8_5 Depth=1
	s_or_b64 exec, exec, s[50:51]
	s_and_b64 s[60:61], s[60:61], exec
	s_and_b64 s[58:59], s[62:63], exec
	;; [unrolled: 1-line block ×4, first 2 shown]
	s_orn2_b64 s[52:53], s[52:53], exec
.LBB8_23:                               ;   in Loop: Header=BB8_5 Depth=1
	s_or_b64 exec, exec, s[12:13]
	s_andn2_b64 s[48:49], s[48:49], exec
	s_and_b64 s[56:57], s[60:61], exec
	s_andn2_b64 s[44:45], s[44:45], exec
	s_or_b64 s[48:49], s[48:49], s[56:57]
	s_or_b64 s[44:45], s[44:45], s[56:57]
	s_andn2_b64 s[46:47], s[46:47], exec
	s_and_b64 s[56:57], s[58:59], exec
	s_andn2_b64 s[42:43], s[42:43], exec
	s_and_b64 s[54:55], s[54:55], exec
	;; [unrolled: 2-line block ×3, first 2 shown]
	s_mov_b64 s[12:13], -1
	s_or_b64 s[46:47], s[46:47], s[56:57]
	s_or_b64 s[42:43], s[42:43], s[54:55]
	;; [unrolled: 1-line block ×3, first 2 shown]
	s_and_saveexec_b64 s[50:51], s[52:53]
	s_cbranch_execz .LBB8_4
; %bb.24:                               ;   in Loop: Header=BB8_5 Depth=1
	v_and_b32_e32 v7, 63, v11
	v_cmp_gt_u32_e32 vcc, 32, v7
	v_cndmask_b32_e64 v6, 0, 1, vcc
	v_lshlrev_b32_e32 v6, 5, v6
	v_add_lshl_u32 v6, v6, v11, 2
	ds_bpermute_b32 v15, v6, v4
	v_cmp_gt_u32_e32 vcc, 48, v7
	v_cndmask_b32_e64 v16, 0, 1, vcc
	v_lshlrev_b32_e32 v16, 4, v16
	v_cmp_gt_u32_e32 vcc, 56, v7
	s_waitcnt lgkmcnt(0)
	v_add_f32_e32 v15, v4, v15
	v_add_lshl_u32 v4, v16, v11, 2
	ds_bpermute_b32 v16, v4, v15
	v_cndmask_b32_e64 v17, 0, 1, vcc
	v_lshlrev_b32_e32 v17, 3, v17
	v_cmp_gt_u32_e32 vcc, 60, v7
	v_cndmask_b32_e64 v18, 0, 1, vcc
	s_waitcnt lgkmcnt(0)
	v_add_f32_e32 v16, v15, v16
	v_add_lshl_u32 v15, v17, v11, 2
	ds_bpermute_b32 v17, v15, v16
	v_lshlrev_b32_e32 v18, 2, v18
	v_cmp_gt_u32_e32 vcc, 62, v7
	v_cndmask_b32_e64 v19, 0, 1, vcc
	v_lshlrev_b32_e32 v19, 1, v19
	s_waitcnt lgkmcnt(0)
	v_add_f32_e32 v17, v16, v17
	v_add_lshl_u32 v16, v18, v11, 2
	ds_bpermute_b32 v18, v16, v17
	v_cmp_ne_u32_e32 vcc, 63, v7
	v_addc_co_u32_e32 v20, vcc, 0, v11, vcc
	s_waitcnt lgkmcnt(0)
	v_add_f32_e32 v18, v17, v18
	v_add_lshl_u32 v17, v19, v11, 2
	ds_bpermute_b32 v19, v17, v18
	s_barrier
	s_waitcnt lgkmcnt(0)
	v_add_f32_e32 v7, v18, v19
	v_lshlrev_b32_e32 v18, 2, v20
	ds_bpermute_b32 v19, v18, v7
	s_and_saveexec_b64 s[12:13], s[2:3]
	s_cbranch_execz .LBB8_26
; %bb.25:                               ;   in Loop: Header=BB8_5 Depth=1
	s_waitcnt lgkmcnt(0)
	v_add_f32_e32 v7, v7, v19
	ds_write_b32 v10, v7
.LBB8_26:                               ;   in Loop: Header=BB8_5 Depth=1
	s_or_b64 exec, exec, s[12:13]
	s_waitcnt lgkmcnt(0)
	s_barrier
	s_load_dword s17, s[26:27], 0xc
	s_load_dword s72, s[26:27], 0x0
	v_mov_b32_e32 v7, 0
	s_waitcnt lgkmcnt(0)
	s_bfe_u32 s12, s17, 0xa0006
	v_cmp_gt_u32_e32 vcc, s12, v0
	s_and_saveexec_b64 s[12:13], vcc
	s_cbranch_execz .LBB8_28
; %bb.27:                               ;   in Loop: Header=BB8_5 Depth=1
	ds_read_b32 v7, v1
.LBB8_28:                               ;   in Loop: Header=BB8_5 Depth=1
	s_or_b64 exec, exec, s[12:13]
	s_and_saveexec_b64 s[12:13], s[4:5]
	s_cbranch_execz .LBB8_30
; %bb.29:                               ;   in Loop: Header=BB8_5 Depth=1
	s_waitcnt lgkmcnt(0)
	ds_bpermute_b32 v6, v6, v7
	s_waitcnt lgkmcnt(0)
	v_add_f32_e32 v6, v7, v6
	ds_bpermute_b32 v4, v4, v6
	s_waitcnt lgkmcnt(0)
	v_add_f32_e32 v4, v6, v4
	;; [unrolled: 3-line block ×6, first 2 shown]
.LBB8_30:                               ;   in Loop: Header=BB8_5 Depth=1
	s_or_b64 exec, exec, s[12:13]
	s_mov_b64 s[12:13], -1
	s_mov_b64 s[64:65], -1
                                        ; implicit-def: $sgpr54_sgpr55
                                        ; implicit-def: $sgpr56_sgpr57
                                        ; implicit-def: $sgpr52_sgpr53
                                        ; implicit-def: $sgpr60_sgpr61
                                        ; implicit-def: $sgpr58_sgpr59
	s_and_saveexec_b64 s[62:63], s[8:9]
	s_cbranch_execz .LBB8_36
; %bb.31:                               ;   in Loop: Header=BB8_5 Depth=1
	v_cmp_neq_f16_e64 s[56:57], |v14|, s19
	s_mov_b64 s[58:59], -1
	s_mov_b64 s[52:53], 0
	s_mov_b64 s[60:61], 0
	;; [unrolled: 1-line block ×3, first 2 shown]
	s_and_saveexec_b64 s[54:55], s[56:57]
	s_cbranch_execz .LBB8_35
; %bb.32:                               ;   in Loop: Header=BB8_5 Depth=1
	s_waitcnt lgkmcnt(0)
	v_cmp_lt_f32_e32 vcc, 0, v7
	s_mov_b64 s[56:57], 0
	s_and_saveexec_b64 s[58:59], vcc
	s_cbranch_execz .LBB8_34
; %bb.33:                               ;   in Loop: Header=BB8_5 Depth=1
	s_lshl_b64 s[60:61], s[6:7], 1
	s_add_u32 s60, s20, s60
	s_addc_u32 s61, s21, s61
	global_load_ushort v4, v5, s[60:61]
	s_mov_b64 s[56:57], exec
	s_waitcnt vmcnt(0)
	v_cvt_f32_f16_e32 v4, v4
	ds_write_b32 v5, v5
	ds_write2_b32 v12, v7, v4 offset1:1
.LBB8_34:                               ;   in Loop: Header=BB8_5 Depth=1
	s_or_b64 exec, exec, s[58:59]
	s_mov_b64 s[64:65], exec
	s_xor_b64 s[58:59], exec, -1
	s_and_b64 s[60:61], s[56:57], exec
.LBB8_35:                               ;   in Loop: Header=BB8_5 Depth=1
	s_or_b64 exec, exec, s[54:55]
	s_and_b64 s[56:57], s[64:65], exec
	s_and_b64 s[54:55], s[58:59], exec
	s_orn2_b64 s[64:65], s[60:61], exec
	s_mov_b64 s[60:61], 0
	s_mov_b64 s[58:59], 0
.LBB8_36:                               ;   in Loop: Header=BB8_5 Depth=1
	s_or_b64 exec, exec, s[62:63]
	s_and_saveexec_b64 s[62:63], s[64:65]
	s_cbranch_execz .LBB8_3
; %bb.37:                               ;   in Loop: Header=BB8_5 Depth=1
	s_waitcnt lgkmcnt(0)
	s_barrier
	ds_read2_b32 v[6:7], v12 offset1:1
	s_waitcnt lgkmcnt(0)
	s_barrier
	v_cmp_neq_f32_e32 vcc, 0, v6
	s_cbranch_vccz .LBB8_66
; %bb.38:                               ;   in Loop: Header=BB8_5 Depth=1
	s_and_b32 s18, s17, 0xffff
	v_cvt_f32_u32_e32 v4, s18
	s_sub_i32 s13, 0, s18
	v_readlane_b32 s12, v22, 0
	s_add_i32 s12, s12, s18
	v_rcp_iflag_f32_e32 v4, v4
	ds_write_b8 v5, v5 offset:4
	v_mul_f32_e32 v4, 0x4f7ffffe, v4
	v_cvt_u32_f32_e32 v4, v4
	v_readfirstlane_b32 s17, v4
	s_mul_i32 s13, s13, s17
	s_mul_hi_u32 s13, s17, s13
	s_add_i32 s17, s17, s13
	s_mul_hi_u32 s13, s12, s17
	s_mul_i32 s17, s13, s18
	s_sub_i32 s12, s12, s17
	s_add_i32 s64, s13, 1
	s_sub_i32 s17, s12, s18
	s_cmp_ge_u32 s12, s18
	s_cselect_b32 s13, s64, s13
	s_cselect_b32 s12, s17, s12
	s_add_i32 s17, s13, 1
	s_cmp_ge_u32 s12, s18
	s_cselect_b32 s17, s17, s13
	s_cmp_lt_i32 s17, 1
	s_mov_b64 s[12:13], 0
	s_cbranch_scc1 .LBB8_59
; %bb.39:                               ;   in Loop: Header=BB8_5 Depth=1
	s_mul_i32 s12, s6, s16
	s_mul_hi_u32 s13, s6, s14
	s_add_i32 s12, s13, s12
	s_mul_i32 s13, s7, s14
	s_add_i32 s13, s12, s13
	s_mul_i32 s12, s6, s14
	s_lshl_b64 s[12:13], s[12:13], 1
	s_add_u32 s68, s22, s12
	s_addc_u32 s69, s23, s13
	v_cvt_f16_f32_e32 v4, v7
	s_cmp_gt_u32 s18, 1
	s_cselect_b64 s[64:65], -1, 0
	s_lshl_b32 s12, s18, 2
	s_add_i32 s70, s12, 8
	s_add_i32 s70, s70, -4
	s_mov_b32 s71, 0
	v_mov_b32_e32 v7, 0
	s_branch .LBB8_42
.LBB8_40:                               ;   in Loop: Header=BB8_42 Depth=2
	s_or_b64 exec, exec, s[12:13]
	ds_write_b8 v5, v13 offset:4
.LBB8_41:                               ;   in Loop: Header=BB8_42 Depth=2
	s_or_b64 exec, exec, s[66:67]
	v_mov_b32_e32 v15, s70
	ds_read_b32 v15, v15
	s_waitcnt lgkmcnt(0)
	s_barrier
	ds_read_u8 v16, v5 offset:4
	s_add_i32 s71, s71, 1
	s_cmp_ge_i32 s71, s17
	s_cselect_b64 s[66:67], -1, 0
	v_add_f32_e32 v7, v7, v15
	s_waitcnt lgkmcnt(0)
	v_readfirstlane_b32 s12, v16
	s_bitcmp1_b32 s12, 0
	s_cselect_b64 s[12:13], -1, 0
	s_or_b64 s[66:67], s[66:67], s[12:13]
	s_and_b64 vcc, exec, s[66:67]
	s_cbranch_vccnz .LBB8_59
.LBB8_42:                               ;   Parent Loop BB8_5 Depth=1
                                        ; =>  This Loop Header: Depth=2
                                        ;       Child Loop BB8_47 Depth 3
                                        ;       Child Loop BB8_56 Depth 3
	s_mul_i32 s12, s71, s18
	v_add_u32_e32 v15, s12, v0
	v_cmp_gt_i32_e64 s[12:13], s33, v15
	v_mov_b32_e32 v16, 0
	s_and_saveexec_b64 s[66:67], s[12:13]
	s_cbranch_execz .LBB8_44
; %bb.43:                               ;   in Loop: Header=BB8_42 Depth=2
	v_mul_lo_u32 v16, v15, s15
	v_ashrrev_i32_e32 v17, 31, v16
	v_lshlrev_b64 v[16:17], 1, v[16:17]
	v_mov_b32_e32 v18, s69
	v_add_co_u32_e32 v16, vcc, s68, v16
	v_addc_co_u32_e32 v17, vcc, v18, v17, vcc
	global_load_ushort v16, v[16:17], off
	s_waitcnt vmcnt(0)
	v_cvt_f32_f16_e32 v16, v16
	v_div_scale_f32 v17, s[74:75], v6, v6, v16
	v_rcp_f32_e32 v18, v17
	v_div_scale_f32 v19, vcc, v16, v6, v16
	v_fma_f32 v20, -v17, v18, 1.0
	v_fmac_f32_e32 v18, v20, v18
	v_mul_f32_e32 v20, v19, v18
	v_fma_f32 v21, -v17, v20, v19
	v_fmac_f32_e32 v20, v21, v18
	v_fma_f32 v17, -v17, v20, v19
	v_div_fmas_f32 v17, v17, v18, v20
	v_div_fixup_f32 v16, v17, v6, v16
.LBB8_44:                               ;   in Loop: Header=BB8_42 Depth=2
	s_or_b64 exec, exec, s[66:67]
	s_andn2_b64 vcc, exec, s[64:65]
	ds_write_b32 v8, v16
	s_waitcnt lgkmcnt(0)
	s_barrier
	s_cbranch_vccnz .LBB8_51
; %bb.45:                               ;   in Loop: Header=BB8_42 Depth=2
	s_mov_b32 s73, 1
	s_branch .LBB8_47
.LBB8_46:                               ;   in Loop: Header=BB8_47 Depth=3
	s_or_b64 exec, exec, s[66:67]
	s_lshl_b32 s73, s73, 1
	s_cmp_ge_u32 s73, s18
	s_waitcnt lgkmcnt(0)
	s_barrier
	s_cbranch_scc1 .LBB8_51
.LBB8_47:                               ;   Parent Loop BB8_5 Depth=1
                                        ;     Parent Loop BB8_42 Depth=2
                                        ; =>    This Inner Loop Header: Depth=3
	v_cmp_le_u32_e32 vcc, s73, v0
	v_mov_b32_e32 v17, 0
	s_and_saveexec_b64 s[66:67], vcc
	s_cbranch_execz .LBB8_49
; %bb.48:                               ;   in Loop: Header=BB8_47 Depth=3
	v_subrev_u32_e32 v17, s73, v0
	v_lshl_add_u32 v17, v17, 2, 8
	ds_read_b32 v17, v17
	ds_read_b32 v18, v8
	s_waitcnt lgkmcnt(0)
	v_add_f32_e32 v17, v17, v18
.LBB8_49:                               ;   in Loop: Header=BB8_47 Depth=3
	s_or_b64 exec, exec, s[66:67]
	s_barrier
	s_and_saveexec_b64 s[66:67], vcc
	s_cbranch_execz .LBB8_46
; %bb.50:                               ;   in Loop: Header=BB8_47 Depth=3
	ds_write_b32 v8, v17
	s_branch .LBB8_46
.LBB8_51:                               ;   in Loop: Header=BB8_42 Depth=2
	ds_read_b32 v17, v8
	v_mov_b32_e32 v18, v7
	s_and_saveexec_b64 s[66:67], s[10:11]
	s_cbranch_execz .LBB8_53
; %bb.52:                               ;   in Loop: Header=BB8_42 Depth=2
	ds_read_b32 v18, v9
	s_waitcnt lgkmcnt(0)
	v_add_f32_e32 v18, v7, v18
.LBB8_53:                               ;   in Loop: Header=BB8_42 Depth=2
	s_or_b64 exec, exec, s[66:67]
	s_and_saveexec_b64 s[66:67], s[12:13]
	s_cbranch_execz .LBB8_41
; %bb.54:                               ;   in Loop: Header=BB8_42 Depth=2
	s_waitcnt lgkmcnt(0)
	v_add_f32_e32 v17, v7, v17
	v_cvt_f16_f32_e32 v18, v18
	v_cvt_f16_f32_e32 v17, v17
	v_cmp_ge_f16_e32 vcc, v4, v18
	v_cmp_nge_f16_e64 s[12:13], v4, v17
	s_and_b64 s[12:13], s[12:13], vcc
	v_cmp_lt_f32_e32 vcc, 0, v16
	s_and_b64 s[12:13], s[12:13], vcc
	s_and_b64 exec, exec, s[12:13]
	s_cbranch_execz .LBB8_41
; %bb.55:                               ;   in Loop: Header=BB8_42 Depth=2
	s_mov_b64 s[12:13], exec
	s_mov_b32 s73, 0
.LBB8_56:                               ;   Parent Loop BB8_5 Depth=1
                                        ;     Parent Loop BB8_42 Depth=2
                                        ; =>    This Inner Loop Header: Depth=3
	s_ff1_i32_b64 s74, s[12:13]
	v_readlane_b32 s76, v15, s74
	s_lshl_b64 s[74:75], 1, s74
	s_max_u32 s73, s73, s76
	s_andn2_b64 s[12:13], s[12:13], s[74:75]
	s_cmp_lg_u64 s[12:13], 0
	s_cbranch_scc1 .LBB8_56
; %bb.57:                               ;   in Loop: Header=BB8_42 Depth=2
	v_mbcnt_lo_u32_b32 v15, exec_lo, 0
	v_mbcnt_hi_u32_b32 v15, exec_hi, v15
	v_cmp_eq_u32_e32 vcc, 0, v15
	s_and_saveexec_b64 s[12:13], vcc
	s_xor_b64 s[12:13], exec, s[12:13]
	s_cbranch_execz .LBB8_40
; %bb.58:                               ;   in Loop: Header=BB8_42 Depth=2
	v_mov_b32_e32 v15, s73
	ds_max_u32 v5, v15
	s_branch .LBB8_40
.LBB8_59:                               ;   in Loop: Header=BB8_5 Depth=1
	s_xor_b64 s[68:69], s[12:13], -1
	s_mov_b64 s[12:13], 0
	s_mov_b64 s[66:67], 0
	s_and_saveexec_b64 s[64:65], s[8:9]
	s_cbranch_execz .LBB8_70
; %bb.60:                               ;   in Loop: Header=BB8_5 Depth=1
	s_and_b64 vcc, exec, s[68:69]
	s_cbranch_vccz .LBB8_67
; %bb.61:                               ;   in Loop: Header=BB8_5 Depth=1
	s_mul_i32 s17, s6, s16
	s_mul_hi_u32 s18, s6, s14
	s_add_i32 s17, s18, s17
	s_mul_i32 s18, s7, s14
	s_add_i32 s67, s17, s18
	s_mul_i32 s66, s6, s14
	s_lshl_b64 s[66:67], s[66:67], 1
	s_add_u32 s18, s22, s66
	v_readlane_b32 s17, v22, 1
	s_addc_u32 s73, s23, s67
	s_mov_b32 s66, s17
	s_mov_b32 s17, s33
	s_branch .LBB8_63
.LBB8_62:                               ;   in Loop: Header=BB8_63 Depth=2
	s_ashr_i32 s67, s66, 31
	s_add_i32 s17, s17, -1
	s_lshl_b64 s[68:69], s[66:67], 1
	s_add_u32 s68, s18, s68
	s_addc_u32 s69, s73, s69
	global_load_ushort v4, v5, s[68:69]
	s_sub_i32 s66, s66, s15
	s_mov_b64 s[68:69], 0
	s_waitcnt vmcnt(0)
	v_cmp_lt_f16_e64 s[70:71], 0, v4
	s_andn2_b64 vcc, exec, s[70:71]
	s_cbranch_vccz .LBB8_65
.LBB8_63:                               ;   Parent Loop BB8_5 Depth=1
                                        ; =>  This Inner Loop Header: Depth=2
	s_cmp_lt_i32 s17, 1
	s_cbranch_scc0 .LBB8_62
; %bb.64:                               ;   in Loop: Header=BB8_5 Depth=1
	s_mov_b64 s[68:69], -1
                                        ; implicit-def: $sgpr66
                                        ; implicit-def: $sgpr17
.LBB8_65:                               ;   in Loop: Header=BB8_5 Depth=1
	s_xor_b64 s[66:67], s[68:69], -1
	v_mov_b32_e32 v4, s17
	s_branch .LBB8_69
.LBB8_66:                               ;   in Loop: Header=BB8_5 Depth=1
	s_mov_b64 s[66:67], 0
	s_and_b64 vcc, exec, s[12:13]
	s_cbranch_vccnz .LBB8_71
	s_branch .LBB8_72
.LBB8_67:                               ;   in Loop: Header=BB8_5 Depth=1
                                        ; implicit-def: $sgpr17
	v_mov_b32_e32 v4, s17
	s_cbranch_execz .LBB8_69
; %bb.68:                               ;   in Loop: Header=BB8_5 Depth=1
	ds_read_b32 v4, v5
	s_mov_b64 s[66:67], -1
.LBB8_69:                               ;   in Loop: Header=BB8_5 Depth=1
	s_and_b64 s[66:67], s[66:67], exec
.LBB8_70:                               ;   in Loop: Header=BB8_5 Depth=1
	s_or_b64 exec, exec, s[64:65]
	s_and_b64 vcc, exec, s[12:13]
	s_cbranch_vccz .LBB8_72
.LBB8_71:                               ;   in Loop: Header=BB8_5 Depth=1
	s_andn2_b64 s[12:13], s[66:67], exec
	s_and_b64 s[64:65], s[8:9], exec
	s_waitcnt lgkmcnt(0)
	v_mov_b32_e32 v4, 0
	s_or_b64 s[66:67], s[12:13], s[64:65]
.LBB8_72:                               ;   in Loop: Header=BB8_5 Depth=1
	s_and_saveexec_b64 s[12:13], s[66:67]
	s_cbranch_execz .LBB8_2
; %bb.73:                               ;   in Loop: Header=BB8_5 Depth=1
	s_lshl_b64 s[64:65], s[6:7], 3
	s_add_u32 s64, s80, s64
	s_addc_u32 s65, s81, s65
	s_waitcnt lgkmcnt(0)
	global_store_dwordx2 v5, v[4:5], s[64:65]
	s_branch .LBB8_2
.LBB8_74:
	s_or_b64 exec, exec, s[28:29]
	s_xor_b64 s[6:7], s[38:39], -1
	s_xor_b64 s[10:11], s[36:37], -1
	;; [unrolled: 1-line block ×4, first 2 shown]
	s_mov_b64 s[2:3], 0
	s_and_saveexec_b64 s[4:5], s[0:1]
	s_xor_b64 s[0:1], exec, s[4:5]
	s_cbranch_execz .LBB8_86
; %bb.75:
	s_mov_b64 s[4:5], 0
	s_and_saveexec_b64 s[2:3], s[8:9]
	s_xor_b64 s[2:3], exec, s[2:3]
	s_cbranch_execz .LBB8_84
; %bb.76:
	;; [unrolled: 5-line block ×3, first 2 shown]
	s_and_saveexec_b64 s[10:11], s[6:7]
	s_xor_b64 s[6:7], exec, s[10:11]
	s_cbranch_execz .LBB8_80
; %bb.78:
	s_and_saveexec_b64 s[10:11], s[24:25]
	s_xor_b64 s[10:11], exec, s[10:11]
	s_cbranch_execnz .LBB8_94
.LBB8_79:
	s_or_b64 exec, exec, s[10:11]
	s_and_b64 s[8:9], s[8:9], exec
.LBB8_80:
	s_andn2_saveexec_b64 s[6:7], s[6:7]
	s_cbranch_execnz .LBB8_93
.LBB8_81:
	s_or_b64 exec, exec, s[6:7]
	s_and_b64 s[8:9], s[8:9], exec
.LBB8_82:
	s_andn2_saveexec_b64 s[4:5], s[4:5]
	s_cbranch_execnz .LBB8_92
.LBB8_83:
	s_or_b64 exec, exec, s[4:5]
	s_and_b64 s[4:5], s[8:9], exec
.LBB8_84:
	s_andn2_saveexec_b64 s[2:3], s[2:3]
	s_cbranch_execnz .LBB8_91
.LBB8_85:
	s_or_b64 exec, exec, s[2:3]
	s_and_b64 s[2:3], s[4:5], exec
.LBB8_86:
	s_andn2_saveexec_b64 s[0:1], s[0:1]
	s_cbranch_execnz .LBB8_90
; %bb.87:
	s_or_b64 exec, exec, s[0:1]
	s_and_saveexec_b64 s[0:1], s[2:3]
.LBB8_88:
	; divergent unreachable
.LBB8_89:
	s_endpgm
.LBB8_90:
	s_or_b64 s[2:3], s[2:3], exec
	s_trap 2
	s_or_b64 exec, exec, s[0:1]
	s_and_saveexec_b64 s[0:1], s[2:3]
	s_cbranch_execnz .LBB8_88
	s_branch .LBB8_89
.LBB8_91:
	s_or_b64 s[4:5], s[4:5], exec
	s_trap 2
	s_branch .LBB8_85
.LBB8_92:
	s_or_b64 s[8:9], s[8:9], exec
	s_trap 2
	s_branch .LBB8_83
.LBB8_93:
	s_or_b64 s[8:9], s[8:9], exec
	s_trap 2
	s_branch .LBB8_81
.LBB8_94:
	s_mov_b64 s[8:9], exec
	s_trap 2
	s_branch .LBB8_79
	.section	.rodata,"a",@progbits
	.p2align	6, 0x0
	.amdhsa_kernel _ZN2at6native12_GLOBAL__N_121sampleMultinomialOnceIN3c104HalfEfEEvPlliPKT_S8_ii
		.amdhsa_group_segment_fixed_size 8
		.amdhsa_private_segment_fixed_size 0
		.amdhsa_kernarg_size 304
		.amdhsa_user_sgpr_count 6
		.amdhsa_user_sgpr_private_segment_buffer 1
		.amdhsa_user_sgpr_dispatch_ptr 0
		.amdhsa_user_sgpr_queue_ptr 0
		.amdhsa_user_sgpr_kernarg_segment_ptr 1
		.amdhsa_user_sgpr_dispatch_id 0
		.amdhsa_user_sgpr_flat_scratch_init 0
		.amdhsa_user_sgpr_kernarg_preload_length 0
		.amdhsa_user_sgpr_kernarg_preload_offset 0
		.amdhsa_user_sgpr_private_segment_size 0
		.amdhsa_uses_dynamic_stack 0
		.amdhsa_system_sgpr_private_segment_wavefront_offset 0
		.amdhsa_system_sgpr_workgroup_id_x 1
		.amdhsa_system_sgpr_workgroup_id_y 0
		.amdhsa_system_sgpr_workgroup_id_z 0
		.amdhsa_system_sgpr_workgroup_info 0
		.amdhsa_system_vgpr_workitem_id 0
		.amdhsa_next_free_vgpr 23
		.amdhsa_next_free_sgpr 96
		.amdhsa_accum_offset 24
		.amdhsa_reserve_vcc 1
		.amdhsa_reserve_flat_scratch 0
		.amdhsa_float_round_mode_32 0
		.amdhsa_float_round_mode_16_64 0
		.amdhsa_float_denorm_mode_32 3
		.amdhsa_float_denorm_mode_16_64 3
		.amdhsa_dx10_clamp 1
		.amdhsa_ieee_mode 1
		.amdhsa_fp16_overflow 0
		.amdhsa_tg_split 0
		.amdhsa_exception_fp_ieee_invalid_op 0
		.amdhsa_exception_fp_denorm_src 0
		.amdhsa_exception_fp_ieee_div_zero 0
		.amdhsa_exception_fp_ieee_overflow 0
		.amdhsa_exception_fp_ieee_underflow 0
		.amdhsa_exception_fp_ieee_inexact 0
		.amdhsa_exception_int_div_zero 0
	.end_amdhsa_kernel
	.section	.text._ZN2at6native12_GLOBAL__N_121sampleMultinomialOnceIN3c104HalfEfEEvPlliPKT_S8_ii,"axG",@progbits,_ZN2at6native12_GLOBAL__N_121sampleMultinomialOnceIN3c104HalfEfEEvPlliPKT_S8_ii,comdat
.Lfunc_end8:
	.size	_ZN2at6native12_GLOBAL__N_121sampleMultinomialOnceIN3c104HalfEfEEvPlliPKT_S8_ii, .Lfunc_end8-_ZN2at6native12_GLOBAL__N_121sampleMultinomialOnceIN3c104HalfEfEEvPlliPKT_S8_ii
                                        ; -- End function
	.section	.AMDGPU.csdata,"",@progbits
; Kernel info:
; codeLenInByte = 3164
; NumSgprs: 100
; NumVgprs: 23
; NumAgprs: 0
; TotalNumVgprs: 23
; ScratchSize: 0
; MemoryBound: 0
; FloatMode: 240
; IeeeMode: 1
; LDSByteSize: 8 bytes/workgroup (compile time only)
; SGPRBlocks: 12
; VGPRBlocks: 2
; NumSGPRsForWavesPerEU: 100
; NumVGPRsForWavesPerEU: 23
; AccumOffset: 24
; Occupancy: 8
; WaveLimiterHint : 0
; COMPUTE_PGM_RSRC2:SCRATCH_EN: 0
; COMPUTE_PGM_RSRC2:USER_SGPR: 6
; COMPUTE_PGM_RSRC2:TRAP_HANDLER: 0
; COMPUTE_PGM_RSRC2:TGID_X_EN: 1
; COMPUTE_PGM_RSRC2:TGID_Y_EN: 0
; COMPUTE_PGM_RSRC2:TGID_Z_EN: 0
; COMPUTE_PGM_RSRC2:TIDIG_COMP_CNT: 0
; COMPUTE_PGM_RSRC3_GFX90A:ACCUM_OFFSET: 5
; COMPUTE_PGM_RSRC3_GFX90A:TG_SPLIT: 0
	.section	.text._ZN2at6native12_GLOBAL__N_132sampleMultinomialWithReplacementIN3c104HalfEEEvNS_15PhiloxCudaStateEiPlliPKT_S9_,"axG",@progbits,_ZN2at6native12_GLOBAL__N_132sampleMultinomialWithReplacementIN3c104HalfEEEvNS_15PhiloxCudaStateEiPlliPKT_S9_,comdat
	.globl	_ZN2at6native12_GLOBAL__N_132sampleMultinomialWithReplacementIN3c104HalfEEEvNS_15PhiloxCudaStateEiPlliPKT_S9_ ; -- Begin function _ZN2at6native12_GLOBAL__N_132sampleMultinomialWithReplacementIN3c104HalfEEEvNS_15PhiloxCudaStateEiPlliPKT_S9_
	.p2align	8
	.type	_ZN2at6native12_GLOBAL__N_132sampleMultinomialWithReplacementIN3c104HalfEEEvNS_15PhiloxCudaStateEiPlliPKT_S9_,@function
_ZN2at6native12_GLOBAL__N_132sampleMultinomialWithReplacementIN3c104HalfEEEvNS_15PhiloxCudaStateEiPlliPKT_S9_: ; @_ZN2at6native12_GLOBAL__N_132sampleMultinomialWithReplacementIN3c104HalfEEEvNS_15PhiloxCudaStateEiPlliPKT_S9_
; %bb.0:
	s_mov_b32 s16, s7
	s_load_dword s7, s[4:5], 0x18
	s_load_dwordx4 s[0:3], s[4:5], 0x0
	s_mov_b32 s17, 0
	s_waitcnt lgkmcnt(0)
	s_bitcmp0_b32 s7, 0
	v_pk_mov_b32 v[6:7], s[2:3], s[2:3] op_sel:[0,1]
	v_pk_mov_b32 v[2:3], s[0:1], s[0:1] op_sel:[0,1]
	s_cbranch_scc1 .LBB9_2
; %bb.1:
	v_pk_mov_b32 v[2:3], s[2:3], s[2:3] op_sel:[0,1]
	flat_load_dwordx2 v[4:5], v[2:3]
	v_pk_mov_b32 v[2:3], s[0:1], s[0:1] op_sel:[0,1]
	flat_load_dwordx2 v[2:3], v[2:3]
	s_load_dwordx2 s[0:1], s[4:5], 0x10
	s_waitcnt lgkmcnt(0)
	v_mov_b32_e32 v1, s1
	s_waitcnt vmcnt(0)
	v_add_co_u32_e32 v6, vcc, s0, v4
	v_addc_co_u32_e32 v7, vcc, v5, v1, vcc
.LBB9_2:
	s_load_dwordx4 s[8:11], s[4:5], 0x28
	s_waitcnt lgkmcnt(0)
	v_pk_mov_b32 v[4:5], s[10:11], s[10:11] op_sel:[0,1]
	v_cmp_ge_i64_e32 vcc, s[16:17], v[4:5]
	s_cbranch_vccnz .LBB9_36
; %bb.3:
	v_mov_b32_e32 v4, v3
	s_mov_b32 s0, 0xdb3d7428
	v_add_co_u32_e32 v15, vcc, s0, v4
	s_mov_b32 s0, 0x5384540f
	v_add_co_u32_e32 v16, vcc, s0, v2
	;; [unrolled: 2-line block ×6, first 2 shown]
	s_mov_b32 s0, 0x76cf5d0a
	s_load_dword s33, s[4:5], 0x20
	s_load_dword s18, s[4:5], 0x38
	v_add_co_u32_e32 v21, vcc, s0, v4
	s_mov_b32 s0, 0x9e3779b9
	v_alignbit_b32 v23, v7, v6, 2
	s_mov_b32 s46, 0xd2511f53
	s_load_dwordx4 s[12:15], s[4:5], 0x40
	s_load_dword s50, s[4:5], 0x50
	v_add_co_u32_e32 v22, vcc, s0, v2
	v_mad_u64_u32 v[8:9], s[0:1], v23, s46, 0
	s_load_dword s0, s[4:5], 0x5c
	s_waitcnt lgkmcnt(0)
	s_ashr_i32 s19, s18, 31
	s_add_u32 s4, s4, 0x50
	s_mul_i32 s1, s50, s16
	s_addc_u32 s5, s5, 0
	s_add_i32 s1, s1, s6
	s_and_b32 s2, s0, 0xffff
	s_mul_i32 s1, s1, s2
	v_add_u32_e32 v24, s1, v0
	v_xor_b32_e32 v5, v9, v3
	v_ashrrev_i32_e32 v25, 31, v24
	v_xor_b32_e32 v5, v5, v25
	s_mov_b32 s47, 0xcd9e8d57
	v_mad_u64_u32 v[10:11], s[0:1], v5, s47, 0
	v_xor_b32_e32 v5, v22, v11
	v_mad_u64_u32 v[26:27], s[0:1], v24, s47, 0
	v_and_b32_e32 v12, 3, v6
	v_xor_b32_e32 v5, v5, v26
	v_xor_b32_e32 v6, v2, v27
	v_lshrrev_b32_e32 v27, 2, v7
	v_mad_u64_u32 v[30:31], s[0:1], v5, s46, 0
	v_xor_b32_e32 v6, v6, v27
	v_xor_b32_e32 v5, v21, v31
	v_mad_u64_u32 v[6:7], s[0:1], v6, s46, 0
	v_xor_b32_e32 v5, v5, v6
	v_mad_u64_u32 v[32:33], s[0:1], v5, s47, 0
	s_mov_b32 s0, 0xbb67ae85
	v_add_co_u32_e32 v26, vcc, s0, v4
	v_xor_b32_e32 v6, v26, v7
	v_xor_b32_e32 v6, v6, v8
	v_xor_b32_e32 v5, v20, v33
	v_mad_u64_u32 v[6:7], s[0:1], v6, s47, 0
	v_xor_b32_e32 v5, v5, v6
	v_mad_u64_u32 v[8:9], s[0:1], v5, s46, 0
	s_mov_b32 s0, 0x3c6ef372
	v_add_co_u32_e32 v28, vcc, s0, v2
	v_xor_b32_e32 v6, v28, v7
	;; [unrolled: 8-line block ×7, first 2 shown]
	v_xor_b32_e32 v4, v4, v34
	v_mad_u64_u32 v[4:5], s[0:1], v4, s47, 0
	s_mov_b32 s0, 0xf1bbcdc8
	v_add_u32_e32 v13, 0x8ff34781, v2
	v_xor_b32_e32 v4, v7, v4
	v_add_co_u32_e32 v34, vcc, s0, v2
	v_xor_b32_e32 v7, v13, v4
	v_xor_b32_e32 v4, v34, v5
	v_xor_b32_e32 v4, v4, v36
	v_mad_u64_u32 v[4:5], s[0:1], v4, s46, 0
	s_mul_i32 s6, s6, s2
	v_add_u32_e32 v14, 0x96a522ad, v3
	v_xor_b32_e32 v5, v5, v8
	v_add_u32_e32 v35, s6, v0
	v_mov_b32_e32 v1, 0
	s_mov_b64 s[20:21], 0
	v_cmp_gt_i64_e64 s[22:23], s[18:19], 0
	v_xor_b32_e32 v5, v14, v5
	v_cmp_gt_i32_e64 s[0:1], s33, v35
	s_add_i32 s48, s18, -1
	s_ashr_i32 s49, s33, 31
	s_mul_i32 s50, s50, s2
	s_lshl_b64 s[6:7], s[18:19], 1
	s_mov_b32 s51, 0x2f800000
                                        ; implicit-def: $sgpr24_sgpr25
                                        ; implicit-def: $sgpr26_sgpr27
	s_branch .LBB9_5
.LBB9_4:                                ;   in Loop: Header=BB9_5 Depth=1
	s_or_b64 exec, exec, s[30:31]
	s_and_b64 s[2:3], exec, s[28:29]
	s_or_b64 s[20:21], s[2:3], s[20:21]
	s_andn2_b64 s[2:3], s[24:25], exec
	s_and_b64 s[24:25], s[26:27], exec
	s_or_b64 s[24:25], s[2:3], s[24:25]
	s_andn2_b64 exec, exec, s[20:21]
	s_cbranch_execz .LBB9_35
.LBB9_5:                                ; =>This Loop Header: Depth=1
                                        ;     Child Loop BB9_9 Depth 2
                                        ;       Child Loop BB9_22 Depth 3
                                        ;       Child Loop BB9_28 Depth 3
	s_mov_b64 s[2:3], -1
                                        ; implicit-def: $sgpr30_sgpr31
	s_and_saveexec_b64 s[28:29], s[0:1]
	s_cbranch_execz .LBB9_33
; %bb.6:                                ;   in Loop: Header=BB9_5 Depth=1
	s_mul_i32 s2, s16, s19
	s_mul_hi_u32 s3, s16, s18
	s_add_i32 s2, s3, s2
	s_mul_i32 s3, s17, s18
	s_add_i32 s3, s2, s3
	s_mul_i32 s2, s16, s18
	s_lshl_b64 s[2:3], s[2:3], 1
	s_add_u32 s52, s12, s2
	s_addc_u32 s53, s13, s3
	s_add_u32 s30, s52, s6
	s_mul_i32 s2, s16, s49
	s_mul_hi_u32 s3, s16, s33
	s_addc_u32 s31, s53, s7
	s_add_i32 s2, s3, s2
	s_mul_i32 s3, s17, s33
	s_add_i32 s3, s2, s3
	s_mul_i32 s2, s16, s33
	s_lshl_b64 s[2:3], s[2:3], 3
	s_add_u32 s54, s8, s2
	s_addc_u32 s55, s9, s3
	s_mul_i32 s2, s6, s17
	s_mul_hi_u32 s3, s6, s16
	s_add_i32 s2, s3, s2
	s_mul_i32 s3, s7, s16
	s_add_i32 s2, s2, s3
	s_mul_i32 s3, s6, s16
	s_add_u32 s56, s14, s3
	s_addc_u32 s57, s15, s2
	s_mov_b64 s[36:37], 0
	v_mov_b32_e32 v8, v35
                                        ; implicit-def: $sgpr34_sgpr35
                                        ; implicit-def: $sgpr38_sgpr39
	s_branch .LBB9_9
.LBB9_7:                                ;   in Loop: Header=BB9_9 Depth=2
	s_mov_b64 s[2:3], -1
	s_mov_b64 s[40:41], -1
                                        ; implicit-def: $vgpr8
                                        ; implicit-def: $vgpr7
                                        ; implicit-def: $vgpr6
                                        ; implicit-def: $vgpr5
                                        ; implicit-def: $vgpr4
                                        ; implicit-def: $vgpr23
                                        ; implicit-def: $vgpr27
                                        ; implicit-def: $vgpr24
                                        ; implicit-def: $vgpr25
.LBB9_8:                                ;   in Loop: Header=BB9_9 Depth=2
	s_xor_b64 s[40:41], s[40:41], -1
	s_and_b64 s[42:43], exec, s[2:3]
	s_or_b64 s[36:37], s[42:43], s[36:37]
	s_andn2_b64 s[38:39], s[38:39], exec
	s_and_b64 s[2:3], s[2:3], exec
	s_or_b64 s[38:39], s[38:39], s[2:3]
	s_andn2_b64 s[2:3], s[34:35], exec
	s_and_b64 s[34:35], s[40:41], exec
	s_or_b64 s[34:35], s[2:3], s[34:35]
	s_andn2_b64 exec, exec, s[36:37]
	s_cbranch_execz .LBB9_32
.LBB9_9:                                ;   Parent Loop BB9_5 Depth=1
                                        ; =>  This Loop Header: Depth=2
                                        ;       Child Loop BB9_22 Depth 3
                                        ;       Child Loop BB9_28 Depth 3
	v_add_co_u32_e32 v23, vcc, 1, v23
	v_cndmask_b32_e64 v0, 0, 1, vcc
	v_addc_co_u32_e32 v27, vcc, 0, v27, vcc
	v_cmp_eq_u32_e32 vcc, 0, v27
	v_cndmask_b32_e32 v9, 0, v0, vcc
	v_add_u32_e32 v24, v9, v24
	v_cmp_eq_u32_e64 s[2:3], 0, v24
	v_cmp_lt_i32_e32 vcc, 1, v12
	s_and_saveexec_b64 s[40:41], vcc
	s_xor_b64 s[40:41], exec, s[40:41]
	s_cbranch_execz .LBB9_15
; %bb.10:                               ;   in Loop: Header=BB9_9 Depth=2
	v_cmp_lt_i32_e32 vcc, 2, v12
	s_and_saveexec_b64 s[42:43], vcc
	s_xor_b64 s[42:43], exec, s[42:43]
; %bb.11:                               ;   in Loop: Header=BB9_9 Depth=2
                                        ; implicit-def: $vgpr5
; %bb.12:                               ;   in Loop: Header=BB9_9 Depth=2
	s_andn2_saveexec_b64 s[42:43], s[42:43]
; %bb.13:                               ;   in Loop: Header=BB9_9 Depth=2
	v_mov_b32_e32 v4, v5
; %bb.14:                               ;   in Loop: Header=BB9_9 Depth=2
	s_or_b64 exec, exec, s[42:43]
                                        ; implicit-def: $vgpr7
                                        ; implicit-def: $vgpr6
.LBB9_15:                               ;   in Loop: Header=BB9_9 Depth=2
	s_andn2_saveexec_b64 s[40:41], s[40:41]
	s_cbranch_execz .LBB9_19
; %bb.16:                               ;   in Loop: Header=BB9_9 Depth=2
	v_cmp_eq_u32_e32 vcc, 1, v12
	s_and_saveexec_b64 s[42:43], vcc
; %bb.17:                               ;   in Loop: Header=BB9_9 Depth=2
	v_mov_b32_e32 v7, v6
; %bb.18:                               ;   in Loop: Header=BB9_9 Depth=2
	s_or_b64 exec, exec, s[42:43]
	v_mov_b32_e32 v4, v7
.LBB9_19:                               ;   in Loop: Header=BB9_9 Depth=2
	s_or_b64 exec, exec, s[40:41]
	global_load_ushort v0, v1, s[30:31] offset:-2
	s_waitcnt vmcnt(0)
	v_cmp_nlt_f16_e32 vcc, 0, v0
	s_cbranch_vccnz .LBB9_7
; %bb.20:                               ;   in Loop: Header=BB9_9 Depth=2
	s_andn2_b64 vcc, exec, s[22:23]
	s_cbranch_vccnz .LBB9_24
; %bb.21:                               ;   in Loop: Header=BB9_9 Depth=2
	v_cvt_f32_u32_e32 v4, v4
	s_mov_b64 s[40:41], 0
	v_mov_b32_e32 v0, s18
	v_mov_b32_e32 v10, 0
	v_fma_mixlo_f16 v4, v4, s51, s51
	v_mov_b32_e32 v5, s18
.LBB9_22:                               ;   Parent Loop BB9_5 Depth=1
                                        ;     Parent Loop BB9_9 Depth=2
                                        ; =>    This Inner Loop Header: Depth=3
	v_lshrrev_b32_e32 v0, 1, v0
	v_add_u32_e32 v0, v0, v10
	v_lshlrev_b64 v[6:7], 1, v[0:1]
	v_mov_b32_e32 v11, s53
	v_add_co_u32_e32 v6, vcc, s52, v6
	v_addc_co_u32_e32 v7, vcc, v11, v7, vcc
	global_load_ushort v6, v[6:7], off
	v_add_u32_e32 v7, 1, v0
	s_waitcnt vmcnt(0)
	v_cmp_lt_f16_e32 vcc, v6, v4
	v_cndmask_b32_e32 v5, v0, v5, vcc
	v_cndmask_b32_e32 v10, v10, v7, vcc
	v_sub_u32_e32 v0, v5, v10
	v_cmp_gt_i32_e32 vcc, 1, v0
	s_or_b64 s[40:41], vcc, s[40:41]
	s_andn2_b64 exec, exec, s[40:41]
	s_cbranch_execnz .LBB9_22
; %bb.23:                               ;   in Loop: Header=BB9_9 Depth=2
	s_or_b64 exec, exec, s[40:41]
	s_branch .LBB9_25
.LBB9_24:                               ;   in Loop: Header=BB9_9 Depth=2
	v_mov_b32_e32 v10, 0
.LBB9_25:                               ;   in Loop: Header=BB9_9 Depth=2
	v_cndmask_b32_e64 v0, 0, v9, s[2:3]
	v_mad_u64_u32 v[4:5], s[2:3], v23, s46, 0
	v_add_u32_e32 v25, v0, v25
	v_mad_u64_u32 v[6:7], s[2:3], v24, s47, 0
	v_xor_b32_e32 v5, v5, v3
	v_xor_b32_e32 v0, v7, v2
	v_xor_b32_e32 v5, v25, v5
	v_xor_b32_e32 v0, v27, v0
	v_mad_u64_u32 v[38:39], s[2:3], v5, s47, 0
	v_mad_u64_u32 v[36:37], s[2:3], v0, s46, 0
	v_xor_b32_e32 v0, v22, v39
	v_xor_b32_e32 v0, v0, v6
	v_xor_b32_e32 v5, v26, v37
	v_xor_b32_e32 v6, v5, v4
	v_mad_u64_u32 v[4:5], s[2:3], v0, s46, 0
	;; [unrolled: 6-line block ×9, first 2 shown]
	v_mad_u64_u32 v[4:5], s[2:3], v0, s46, 0
	v_xor_b32_e32 v0, v7, v42
	v_xor_b32_e32 v7, v13, v0
	;; [unrolled: 1-line block ×4, first 2 shown]
	v_mov_b32_e32 v0, s48
	v_cmp_eq_u32_e32 vcc, s18, v10
	v_cndmask_b32_e32 v0, v10, v0, vcc
	v_cmp_lt_i32_e32 vcc, 0, v0
	s_and_saveexec_b64 s[2:3], vcc
	s_cbranch_execz .LBB9_31
; %bb.26:                               ;   in Loop: Header=BB9_9 Depth=2
	v_lshlrev_b64 v[10:11], 1, v[0:1]
	v_mov_b32_e32 v9, s57
	v_add_co_u32_e32 v10, vcc, s56, v10
	v_addc_co_u32_e32 v11, vcc, v9, v11, vcc
	s_mov_b64 s[40:41], 0
                                        ; implicit-def: $sgpr42_sgpr43
	s_branch .LBB9_28
.LBB9_27:                               ;   in Loop: Header=BB9_28 Depth=3
	s_or_b64 exec, exec, s[44:45]
	s_and_b64 s[44:45], exec, s[42:43]
	v_mov_b32_e32 v36, v0
	s_or_b64 s[40:41], s[44:45], s[40:41]
	v_mov_b32_e32 v0, v9
	s_andn2_b64 exec, exec, s[40:41]
	s_cbranch_execz .LBB9_30
.LBB9_28:                               ;   Parent Loop BB9_5 Depth=1
                                        ;     Parent Loop BB9_9 Depth=2
                                        ; =>    This Inner Loop Header: Depth=3
	global_load_ushort v9, v[10:11], off
	s_or_b64 s[42:43], s[42:43], exec
	s_waitcnt vmcnt(0)
	v_cmp_eq_f16_e32 vcc, 0, v9
                                        ; implicit-def: $vgpr9
	s_and_saveexec_b64 s[44:45], vcc
	s_cbranch_execz .LBB9_27
; %bb.29:                               ;   in Loop: Header=BB9_28 Depth=3
	v_add_co_u32_e32 v10, vcc, -2, v10
	v_addc_co_u32_e32 v11, vcc, -1, v11, vcc
	v_cmp_gt_u32_e32 vcc, 2, v0
	s_andn2_b64 s[42:43], s[42:43], exec
	s_and_b64 s[58:59], vcc, exec
	v_add_u32_e32 v9, -1, v0
	v_mov_b32_e32 v0, 0
	s_or_b64 s[42:43], s[42:43], s[58:59]
	s_branch .LBB9_27
.LBB9_30:                               ;   in Loop: Header=BB9_9 Depth=2
	s_or_b64 exec, exec, s[40:41]
	v_mov_b32_e32 v0, v36
.LBB9_31:                               ;   in Loop: Header=BB9_9 Depth=2
	s_or_b64 exec, exec, s[2:3]
	v_ashrrev_i32_e32 v9, 31, v8
	v_lshlrev_b64 v[36:37], 3, v[8:9]
	v_ashrrev_i32_e32 v11, 31, v0
	v_mov_b32_e32 v10, v0
	v_mov_b32_e32 v0, s55
	v_add_co_u32_e32 v36, vcc, s54, v36
	v_addc_co_u32_e32 v37, vcc, v0, v37, vcc
	v_add_u32_e32 v8, s50, v8
	global_store_dwordx2 v[36:37], v[10:11], off
	v_cmp_le_i32_e64 s[2:3], s33, v8
	s_mov_b64 s[40:41], 0
	s_branch .LBB9_8
.LBB9_32:                               ;   in Loop: Header=BB9_5 Depth=1
	s_or_b64 exec, exec, s[36:37]
	s_and_b64 s[30:31], s[38:39], exec
	s_orn2_b64 s[2:3], s[34:35], exec
.LBB9_33:                               ;   in Loop: Header=BB9_5 Depth=1
	s_or_b64 exec, exec, s[28:29]
	s_andn2_b64 s[26:27], s[26:27], exec
	s_and_b64 s[30:31], s[30:31], exec
	s_mov_b64 s[28:29], -1
	s_or_b64 s[26:27], s[26:27], s[30:31]
	s_and_saveexec_b64 s[30:31], s[2:3]
	s_cbranch_execz .LBB9_4
; %bb.34:                               ;   in Loop: Header=BB9_5 Depth=1
	s_load_dword s2, s[4:5], 0x4
	v_pk_mov_b32 v[8:9], s[10:11], s[10:11] op_sel:[0,1]
	s_waitcnt lgkmcnt(0)
	s_add_u32 s16, s16, s2
	s_addc_u32 s17, s17, 0
	v_cmp_ge_i64_e32 vcc, s[16:17], v[8:9]
	s_andn2_b64 s[26:27], s[26:27], exec
	s_orn2_b64 s[28:29], vcc, exec
	s_branch .LBB9_4
.LBB9_35:
	s_or_b64 exec, exec, s[20:21]
	s_and_saveexec_b64 s[0:1], s[24:25]
	s_xor_b64 s[0:1], exec, s[0:1]
	s_cbranch_execnz .LBB9_37
.LBB9_36:
	s_endpgm
.LBB9_37:
	s_trap 2
	; divergent unreachable
	s_endpgm
	.section	.rodata,"a",@progbits
	.p2align	6, 0x0
	.amdhsa_kernel _ZN2at6native12_GLOBAL__N_132sampleMultinomialWithReplacementIN3c104HalfEEEvNS_15PhiloxCudaStateEiPlliPKT_S9_
		.amdhsa_group_segment_fixed_size 0
		.amdhsa_private_segment_fixed_size 0
		.amdhsa_kernarg_size 336
		.amdhsa_user_sgpr_count 6
		.amdhsa_user_sgpr_private_segment_buffer 1
		.amdhsa_user_sgpr_dispatch_ptr 0
		.amdhsa_user_sgpr_queue_ptr 0
		.amdhsa_user_sgpr_kernarg_segment_ptr 1
		.amdhsa_user_sgpr_dispatch_id 0
		.amdhsa_user_sgpr_flat_scratch_init 0
		.amdhsa_user_sgpr_kernarg_preload_length 0
		.amdhsa_user_sgpr_kernarg_preload_offset 0
		.amdhsa_user_sgpr_private_segment_size 0
		.amdhsa_uses_dynamic_stack 0
		.amdhsa_system_sgpr_private_segment_wavefront_offset 0
		.amdhsa_system_sgpr_workgroup_id_x 1
		.amdhsa_system_sgpr_workgroup_id_y 1
		.amdhsa_system_sgpr_workgroup_id_z 0
		.amdhsa_system_sgpr_workgroup_info 0
		.amdhsa_system_vgpr_workitem_id 0
		.amdhsa_next_free_vgpr 44
		.amdhsa_next_free_sgpr 60
		.amdhsa_accum_offset 44
		.amdhsa_reserve_vcc 1
		.amdhsa_reserve_flat_scratch 0
		.amdhsa_float_round_mode_32 0
		.amdhsa_float_round_mode_16_64 0
		.amdhsa_float_denorm_mode_32 3
		.amdhsa_float_denorm_mode_16_64 3
		.amdhsa_dx10_clamp 1
		.amdhsa_ieee_mode 1
		.amdhsa_fp16_overflow 0
		.amdhsa_tg_split 0
		.amdhsa_exception_fp_ieee_invalid_op 0
		.amdhsa_exception_fp_denorm_src 0
		.amdhsa_exception_fp_ieee_div_zero 0
		.amdhsa_exception_fp_ieee_overflow 0
		.amdhsa_exception_fp_ieee_underflow 0
		.amdhsa_exception_fp_ieee_inexact 0
		.amdhsa_exception_int_div_zero 0
	.end_amdhsa_kernel
	.section	.text._ZN2at6native12_GLOBAL__N_132sampleMultinomialWithReplacementIN3c104HalfEEEvNS_15PhiloxCudaStateEiPlliPKT_S9_,"axG",@progbits,_ZN2at6native12_GLOBAL__N_132sampleMultinomialWithReplacementIN3c104HalfEEEvNS_15PhiloxCudaStateEiPlliPKT_S9_,comdat
.Lfunc_end9:
	.size	_ZN2at6native12_GLOBAL__N_132sampleMultinomialWithReplacementIN3c104HalfEEEvNS_15PhiloxCudaStateEiPlliPKT_S9_, .Lfunc_end9-_ZN2at6native12_GLOBAL__N_132sampleMultinomialWithReplacementIN3c104HalfEEEvNS_15PhiloxCudaStateEiPlliPKT_S9_
                                        ; -- End function
	.section	.AMDGPU.csdata,"",@progbits
; Kernel info:
; codeLenInByte = 1984
; NumSgprs: 64
; NumVgprs: 44
; NumAgprs: 0
; TotalNumVgprs: 44
; ScratchSize: 0
; MemoryBound: 0
; FloatMode: 240
; IeeeMode: 1
; LDSByteSize: 0 bytes/workgroup (compile time only)
; SGPRBlocks: 7
; VGPRBlocks: 5
; NumSGPRsForWavesPerEU: 64
; NumVGPRsForWavesPerEU: 44
; AccumOffset: 44
; Occupancy: 8
; WaveLimiterHint : 0
; COMPUTE_PGM_RSRC2:SCRATCH_EN: 0
; COMPUTE_PGM_RSRC2:USER_SGPR: 6
; COMPUTE_PGM_RSRC2:TRAP_HANDLER: 0
; COMPUTE_PGM_RSRC2:TGID_X_EN: 1
; COMPUTE_PGM_RSRC2:TGID_Y_EN: 1
; COMPUTE_PGM_RSRC2:TGID_Z_EN: 0
; COMPUTE_PGM_RSRC2:TIDIG_COMP_CNT: 0
; COMPUTE_PGM_RSRC3_GFX90A:ACCUM_OFFSET: 10
; COMPUTE_PGM_RSRC3_GFX90A:TG_SPLIT: 0
	.section	.text._ZN2at6native12_GLOBAL__N_121sampleMultinomialOnceIN3c108BFloat16EfEEvPlliPKT_S8_ii,"axG",@progbits,_ZN2at6native12_GLOBAL__N_121sampleMultinomialOnceIN3c108BFloat16EfEEvPlliPKT_S8_ii,comdat
	.globl	_ZN2at6native12_GLOBAL__N_121sampleMultinomialOnceIN3c108BFloat16EfEEvPlliPKT_S8_ii ; -- Begin function _ZN2at6native12_GLOBAL__N_121sampleMultinomialOnceIN3c108BFloat16EfEEvPlliPKT_S8_ii
	.p2align	8
	.type	_ZN2at6native12_GLOBAL__N_121sampleMultinomialOnceIN3c108BFloat16EfEEvPlliPKT_S8_ii,@function
_ZN2at6native12_GLOBAL__N_121sampleMultinomialOnceIN3c108BFloat16EfEEvPlliPKT_S8_ii: ; @_ZN2at6native12_GLOBAL__N_121sampleMultinomialOnceIN3c108BFloat16EfEEvPlliPKT_S8_ii
; %bb.0:
	s_load_dwordx4 s[80:83], s[4:5], 0x0
	s_mov_b32 s7, 0
	s_waitcnt lgkmcnt(0)
	v_pk_mov_b32 v[2:3], s[82:83], s[82:83] op_sel:[0,1]
	v_cmp_ge_i64_e32 vcc, s[6:7], v[2:3]
	s_cbranch_vccnz .LBB10_90
; %bb.1:
	s_load_dword s33, s[4:5], 0x10
	s_load_dwordx2 s[14:15], s[4:5], 0x28
	s_load_dwordx4 s[20:23], s[4:5], 0x18
	v_lshlrev_b32_e32 v2, 2, v0
	v_lshrrev_b32_e32 v4, 4, v0
	v_add_u32_e32 v8, 8, v2
	s_waitcnt lgkmcnt(0)
	s_ashr_i32 s16, s14, 31
	s_add_u32 s26, s4, 48
	v_add3_u32 v9, 8, -4, v2
	v_mul_lo_u32 v2, v0, s15
	s_addc_u32 s27, s5, 0
	v_and_b32_e32 v1, 63, v0
	s_add_i32 s12, s33, -1
	v_ashrrev_i32_e32 v3, 31, v2
                                        ; implicit-def: $vgpr23 : SGPR spill to VGPR lane
	v_add_u32_e32 v10, 8, v4
	v_mbcnt_lo_u32_b32 v4, -1, 0
	v_cmp_gt_i32_e64 s[0:1], s33, v0
	v_cmp_eq_u32_e64 s[2:3], 0, v1
	v_lshl_add_u32 v1, v1, 2, 8
	v_cmp_gt_u32_e64 s[4:5], 64, v0
	v_cmp_eq_u32_e64 s[8:9], 0, v0
	v_cmp_ne_u32_e64 s[10:11], 0, v0
	v_writelane_b32 v23, s12, 0
	s_mul_i32 s12, s15, s12
	s_mov_b64 s[28:29], 0
	v_lshlrev_b64 v[2:3], 1, v[2:3]
	v_mov_b32_e32 v5, 0
	s_movk_i32 s18, 0x7fff
	v_mbcnt_hi_u32_b32 v11, -1, v4
	v_mov_b32_e32 v12, 8
	v_mov_b32_e32 v13, 0x7fc00000
	;; [unrolled: 1-line block ×3, first 2 shown]
	v_writelane_b32 v23, s12, 1
                                        ; implicit-def: $sgpr30_sgpr31
                                        ; implicit-def: $sgpr34_sgpr35
                                        ; implicit-def: $sgpr36_sgpr37
                                        ; implicit-def: $sgpr38_sgpr39
                                        ; implicit-def: $sgpr24_sgpr25
                                        ; implicit-def: $sgpr40_sgpr41
                                        ; implicit-def: $sgpr42_sgpr43
                                        ; implicit-def: $sgpr46_sgpr47
                                        ; implicit-def: $sgpr44_sgpr45
                                        ; implicit-def: $sgpr48_sgpr49
                                        ; implicit-def: $vgpr15
	s_branch .LBB10_5
.LBB10_2:                               ;   in Loop: Header=BB10_5 Depth=1
	s_or_b64 exec, exec, s[12:13]
	s_add_u32 s6, s6, s72
	s_addc_u32 s7, s7, 0
	v_pk_mov_b32 v[6:7], s[82:83], s[82:83] op_sel:[0,1]
	v_cmp_ge_i64_e32 vcc, s[6:7], v[6:7]
	s_andn2_b64 s[56:57], s[56:57], exec
	s_andn2_b64 s[54:55], s[54:55], exec
	;; [unrolled: 1-line block ×5, first 2 shown]
	s_orn2_b64 s[12:13], vcc, exec
.LBB10_3:                               ;   in Loop: Header=BB10_5 Depth=1
	s_or_b64 exec, exec, s[62:63]
	s_andn2_b64 s[46:47], s[46:47], exec
	s_and_b64 s[52:53], s[52:53], exec
	s_or_b64 s[46:47], s[46:47], s[52:53]
	s_andn2_b64 s[42:43], s[42:43], exec
	s_and_b64 s[52:53], s[60:61], exec
	s_andn2_b64 s[48:49], s[48:49], exec
	s_and_b64 s[56:57], s[56:57], exec
	s_andn2_b64 s[44:45], s[44:45], exec
	s_and_b64 s[54:55], s[54:55], exec
	s_or_b64 s[42:43], s[42:43], s[52:53]
	s_andn2_b64 s[40:41], s[40:41], exec
	s_and_b64 s[52:53], s[58:59], exec
	s_or_b64 s[48:49], s[48:49], s[56:57]
	s_or_b64 s[44:45], s[44:45], s[54:55]
	;; [unrolled: 1-line block ×3, first 2 shown]
	s_orn2_b64 s[12:13], s[12:13], exec
.LBB10_4:                               ;   in Loop: Header=BB10_5 Depth=1
	s_or_b64 exec, exec, s[50:51]
	s_and_b64 s[12:13], exec, s[12:13]
	s_or_b64 s[28:29], s[12:13], s[28:29]
	s_andn2_b64 s[12:13], s[24:25], exec
	s_and_b64 s[24:25], s[48:49], exec
	s_or_b64 s[24:25], s[12:13], s[24:25]
	s_andn2_b64 s[12:13], s[38:39], exec
	s_and_b64 s[38:39], s[44:45], exec
	;; [unrolled: 3-line block ×5, first 2 shown]
	s_or_b64 s[30:31], s[12:13], s[30:31]
	s_andn2_b64 exec, exec, s[28:29]
	s_cbranch_execz .LBB10_75
.LBB10_5:                               ; =>This Loop Header: Depth=1
                                        ;     Child Loop BB10_14 Depth 2
                                        ;     Child Loop BB10_42 Depth 2
                                        ;       Child Loop BB10_47 Depth 3
                                        ;       Child Loop BB10_57 Depth 3
                                        ;     Child Loop BB10_64 Depth 2
	s_mov_b64 s[52:53], -1
	s_waitcnt lgkmcnt(0)
	v_mov_b32_e32 v4, 0
                                        ; implicit-def: $sgpr50_sgpr51
                                        ; implicit-def: $sgpr56_sgpr57
                                        ; implicit-def: $sgpr58_sgpr59
                                        ; implicit-def: $sgpr62_sgpr63
	s_and_saveexec_b64 s[12:13], s[0:1]
	s_cbranch_execz .LBB10_23
; %bb.6:                                ;   in Loop: Header=BB10_5 Depth=1
	s_mul_i32 s17, s6, s16
	s_mul_hi_u32 s19, s6, s14
	s_add_i32 s17, s19, s17
	s_mul_i32 s19, s7, s14
	s_add_i32 s51, s17, s19
	s_mul_i32 s50, s6, s14
	s_lshl_b64 s[50:51], s[50:51], 1
	s_add_u32 s17, s22, s50
	s_addc_u32 s72, s23, s51
	v_mov_b32_e32 v4, s72
	v_add_co_u32_e32 v6, vcc, s17, v2
	v_addc_co_u32_e32 v7, vcc, v4, v3, vcc
	global_load_ushort v15, v[6:7], off
	s_mov_b64 s[54:55], -1
	s_mov_b64 s[52:53], 0
	v_mov_b32_e32 v4, 0
	s_mov_b64 s[60:61], 0
	s_mov_b64 s[58:59], 0
	;; [unrolled: 1-line block ×3, first 2 shown]
	s_waitcnt vmcnt(0)
	v_lshlrev_b32_e32 v6, 16, v15
	v_cmp_o_f32_e32 vcc, v6, v6
	s_and_saveexec_b64 s[50:51], vcc
	s_cbranch_execz .LBB10_22
; %bb.7:                                ;   in Loop: Header=BB10_5 Depth=1
	s_mov_b32 s19, 0x7f800000
	v_cmp_neq_f32_e64 s[58:59], |v6|, s19
	s_mov_b64 s[56:57], 0
	v_mov_b32_e32 v4, 0
	s_mov_b64 s[62:63], 0
	s_mov_b64 s[64:65], 0
	s_and_saveexec_b64 s[52:53], s[58:59]
	s_cbranch_execz .LBB10_21
; %bb.8:                                ;   in Loop: Header=BB10_5 Depth=1
	v_cmp_ngt_f32_e32 vcc, 0, v6
	s_mov_b64 s[56:57], -1
	s_mov_b64 s[58:59], 0
	v_mov_b32_e32 v4, 0
	s_and_saveexec_b64 s[54:55], vcc
	s_cbranch_execz .LBB10_20
; %bb.9:                                ;   in Loop: Header=BB10_5 Depth=1
	s_load_dword s19, s[26:27], 0xc
	v_add_f32_e32 v4, 0, v6
	s_mov_b64 s[58:59], -1
	s_mov_b64 s[68:69], -1
	s_mov_b64 s[70:71], 0
	s_waitcnt lgkmcnt(0)
	s_and_b32 s19, s19, 0xffff
	v_add_u32_e32 v16, s19, v0
	v_cmp_gt_i32_e32 vcc, s33, v16
	s_and_saveexec_b64 s[56:57], vcc
	s_cbranch_execz .LBB10_19
; %bb.10:                               ;   in Loop: Header=BB10_5 Depth=1
	v_writelane_b32 v23, s80, 2
	v_writelane_b32 v23, s81, 3
	;; [unrolled: 1-line block ×3, first 2 shown]
	v_mul_lo_u32 v6, s15, v16
	v_mov_b32_e32 v17, s72
	v_writelane_b32 v23, s83, 5
                                        ; implicit-def: $sgpr58_sgpr59
                                        ; implicit-def: $sgpr68_sgpr69
                                        ; implicit-def: $sgpr66_sgpr67
                                        ; implicit-def: $sgpr64_sgpr65
                                        ; implicit-def: $sgpr62_sgpr63
                                        ; implicit-def: $sgpr72_sgpr73
                                        ; implicit-def: $sgpr70_sgpr71
                                        ; implicit-def: $sgpr74_sgpr75
                                        ; implicit-def: $sgpr76_sgpr77
                                        ; implicit-def: $sgpr78_sgpr79
                                        ; implicit-def: $sgpr80_sgpr81
	s_branch .LBB10_14
.LBB10_11:                              ;   in Loop: Header=BB10_14 Depth=2
	s_or_b64 exec, exec, s[88:89]
	s_mov_b64 s[88:89], exec
	s_orn2_b64 s[94:95], s[92:93], exec
	s_xor_b64 s[92:93], exec, -1
	s_orn2_b64 s[90:91], s[90:91], exec
.LBB10_12:                              ;   in Loop: Header=BB10_14 Depth=2
	s_or_b64 exec, exec, s[86:87]
	s_andn2_b64 s[80:81], s[80:81], exec
	s_and_b64 s[86:87], s[94:95], exec
	s_or_b64 s[80:81], s[80:81], s[86:87]
	s_andn2_b64 s[78:79], s[78:79], exec
	s_and_b64 s[84:85], s[84:85], exec
	s_andn2_b64 s[76:77], s[76:77], exec
	s_and_b64 s[86:87], s[92:93], exec
	s_andn2_b64 s[70:71], s[70:71], exec
	s_or_b64 s[78:79], s[78:79], s[84:85]
	s_or_b64 s[76:77], s[76:77], s[86:87]
	s_andn2_b64 s[74:75], s[74:75], exec
	s_and_b64 s[86:87], s[88:89], exec
	s_or_b64 s[70:71], s[70:71], s[84:85]
	s_andn2_b64 s[72:73], s[72:73], exec
	s_and_b64 s[84:85], s[90:91], exec
	s_or_b64 s[74:75], s[74:75], s[86:87]
	s_or_b64 s[72:73], s[72:73], s[84:85]
.LBB10_13:                              ;   in Loop: Header=BB10_14 Depth=2
	s_or_b64 exec, exec, s[82:83]
	s_xor_b64 s[82:83], s[80:81], -1
	s_and_b64 s[84:85], exec, s[72:73]
	s_or_b64 s[60:61], s[84:85], s[60:61]
	s_andn2_b64 s[62:63], s[62:63], exec
	s_and_b64 s[84:85], s[78:79], exec
	s_or_b64 s[62:63], s[62:63], s[84:85]
	s_andn2_b64 s[64:65], s[64:65], exec
	s_and_b64 s[84:85], s[76:77], exec
	;; [unrolled: 3-line block ×4, first 2 shown]
	s_andn2_b64 s[58:59], s[58:59], exec
	s_and_b64 s[82:83], s[82:83], exec
	s_or_b64 s[68:69], s[68:69], s[84:85]
	s_or_b64 s[58:59], s[58:59], s[82:83]
	s_andn2_b64 exec, exec, s[60:61]
	s_cbranch_execz .LBB10_18
.LBB10_14:                              ;   Parent Loop BB10_5 Depth=1
                                        ; =>  This Inner Loop Header: Depth=2
	v_ashrrev_i32_e32 v7, 31, v6
	v_lshlrev_b64 v[18:19], 1, v[6:7]
	v_add_co_u32_e32 v18, vcc, s17, v18
	v_addc_co_u32_e32 v19, vcc, v17, v19, vcc
	global_load_ushort v15, v[18:19], off
	s_or_b64 s[80:81], s[80:81], exec
	s_or_b64 s[78:79], s[78:79], exec
	s_andn2_b64 s[76:77], s[76:77], exec
	s_andn2_b64 s[74:75], s[74:75], exec
	;; [unrolled: 1-line block ×3, first 2 shown]
	s_or_b64 s[72:73], s[72:73], exec
	s_waitcnt vmcnt(0)
	v_lshlrev_b32_e32 v7, 16, v15
	v_cmp_o_f32_e32 vcc, v7, v7
	s_and_saveexec_b64 s[82:83], vcc
	s_cbranch_execz .LBB10_13
; %bb.15:                               ;   in Loop: Header=BB10_14 Depth=2
	s_mov_b32 s84, 0x7f800000
	v_cmp_neq_f32_e64 vcc, |v7|, s84
	s_mov_b64 s[84:85], 0
	s_mov_b64 s[90:91], -1
	s_mov_b64 s[88:89], 0
	s_mov_b64 s[92:93], -1
	s_mov_b64 s[94:95], -1
	s_and_saveexec_b64 s[86:87], vcc
	s_cbranch_execz .LBB10_12
; %bb.16:                               ;   in Loop: Header=BB10_14 Depth=2
	v_cmp_ngt_f32_e32 vcc, 0, v7
	s_and_saveexec_b64 s[88:89], vcc
	s_cbranch_execz .LBB10_11
; %bb.17:                               ;   in Loop: Header=BB10_14 Depth=2
	v_add_u32_e32 v16, s19, v16
	s_mul_i32 s90, s15, s19
	v_cmp_le_i32_e32 vcc, s33, v16
	v_add_f32_e32 v4, v4, v7
	v_add_u32_e32 v6, s90, v6
	s_xor_b64 s[92:93], exec, -1
	s_orn2_b64 s[90:91], vcc, exec
	s_branch .LBB10_11
.LBB10_18:                              ;   in Loop: Header=BB10_5 Depth=1
	s_or_b64 exec, exec, s[60:61]
	v_readlane_b32 s80, v23, 2
	s_and_b64 s[70:71], s[68:69], exec
	s_orn2_b64 s[68:69], s[66:67], exec
	s_and_b64 s[64:65], s[64:65], exec
	s_and_b64 s[60:61], s[62:63], exec
	s_orn2_b64 s[58:59], s[58:59], exec
	v_readlane_b32 s81, v23, 3
	v_readlane_b32 s82, v23, 4
	v_readlane_b32 s83, v23, 5
.LBB10_19:                              ;   in Loop: Header=BB10_5 Depth=1
	s_or_b64 exec, exec, s[56:57]
	s_and_b64 s[66:67], s[70:71], exec
	s_orn2_b64 s[56:57], s[68:69], exec
	s_and_b64 s[62:63], s[64:65], exec
	s_and_b64 s[60:61], s[60:61], exec
	;; [unrolled: 1-line block ×3, first 2 shown]
.LBB10_20:                              ;   in Loop: Header=BB10_5 Depth=1
	s_or_b64 exec, exec, s[54:55]
	s_and_b64 s[66:67], s[66:67], exec
	s_and_b64 s[64:65], s[56:57], exec
	s_orn2_b64 s[54:55], s[62:63], exec
	s_and_b64 s[62:63], s[60:61], exec
	s_and_b64 s[56:57], s[58:59], exec
.LBB10_21:                              ;   in Loop: Header=BB10_5 Depth=1
	s_or_b64 exec, exec, s[52:53]
	s_and_b64 s[66:67], s[66:67], exec
	s_and_b64 s[58:59], s[64:65], exec
	;; [unrolled: 1-line block ×3, first 2 shown]
	s_orn2_b64 s[54:55], s[62:63], exec
	s_and_b64 s[52:53], s[56:57], exec
.LBB10_22:                              ;   in Loop: Header=BB10_5 Depth=1
	s_or_b64 exec, exec, s[50:51]
	s_and_b64 s[62:63], s[66:67], exec
	s_and_b64 s[58:59], s[58:59], exec
	s_and_b64 s[56:57], s[60:61], exec
	s_and_b64 s[50:51], s[54:55], exec
	s_orn2_b64 s[52:53], s[52:53], exec
.LBB10_23:                              ;   in Loop: Header=BB10_5 Depth=1
	s_or_b64 exec, exec, s[12:13]
	s_andn2_b64 s[48:49], s[48:49], exec
	s_and_b64 s[54:55], s[62:63], exec
	s_andn2_b64 s[44:45], s[44:45], exec
	s_or_b64 s[48:49], s[48:49], s[54:55]
	s_or_b64 s[44:45], s[44:45], s[54:55]
	s_andn2_b64 s[46:47], s[46:47], exec
	s_and_b64 s[54:55], s[58:59], exec
	s_or_b64 s[46:47], s[46:47], s[54:55]
	s_andn2_b64 s[42:43], s[42:43], exec
	s_and_b64 s[54:55], s[56:57], exec
	s_andn2_b64 s[40:41], s[40:41], exec
	s_and_b64 s[50:51], s[50:51], exec
	s_mov_b64 s[12:13], -1
	s_or_b64 s[42:43], s[42:43], s[54:55]
	s_or_b64 s[40:41], s[40:41], s[50:51]
	s_and_saveexec_b64 s[50:51], s[52:53]
	s_cbranch_execz .LBB10_4
; %bb.24:                               ;   in Loop: Header=BB10_5 Depth=1
	v_and_b32_e32 v7, 63, v11
	v_cmp_gt_u32_e32 vcc, 32, v7
	v_cndmask_b32_e64 v6, 0, 1, vcc
	v_lshlrev_b32_e32 v6, 5, v6
	v_add_lshl_u32 v6, v6, v11, 2
	ds_bpermute_b32 v16, v6, v4
	v_cmp_gt_u32_e32 vcc, 48, v7
	v_cndmask_b32_e64 v17, 0, 1, vcc
	v_lshlrev_b32_e32 v17, 4, v17
	v_cmp_gt_u32_e32 vcc, 56, v7
	s_waitcnt lgkmcnt(0)
	v_add_f32_e32 v16, v4, v16
	v_add_lshl_u32 v4, v17, v11, 2
	ds_bpermute_b32 v17, v4, v16
	v_cndmask_b32_e64 v18, 0, 1, vcc
	v_lshlrev_b32_e32 v18, 3, v18
	v_cmp_gt_u32_e32 vcc, 60, v7
	v_cndmask_b32_e64 v19, 0, 1, vcc
	s_waitcnt lgkmcnt(0)
	v_add_f32_e32 v17, v16, v17
	v_add_lshl_u32 v16, v18, v11, 2
	ds_bpermute_b32 v18, v16, v17
	v_lshlrev_b32_e32 v19, 2, v19
	v_cmp_gt_u32_e32 vcc, 62, v7
	v_cndmask_b32_e64 v20, 0, 1, vcc
	v_lshlrev_b32_e32 v20, 1, v20
	s_waitcnt lgkmcnt(0)
	v_add_f32_e32 v18, v17, v18
	v_add_lshl_u32 v17, v19, v11, 2
	ds_bpermute_b32 v19, v17, v18
	v_cmp_ne_u32_e32 vcc, 63, v7
	v_addc_co_u32_e32 v21, vcc, 0, v11, vcc
	s_waitcnt lgkmcnt(0)
	v_add_f32_e32 v19, v18, v19
	v_add_lshl_u32 v18, v20, v11, 2
	ds_bpermute_b32 v20, v18, v19
	s_barrier
	s_waitcnt lgkmcnt(0)
	v_add_f32_e32 v7, v19, v20
	v_lshlrev_b32_e32 v19, 2, v21
	ds_bpermute_b32 v20, v19, v7
	s_and_saveexec_b64 s[12:13], s[2:3]
	s_cbranch_execz .LBB10_26
; %bb.25:                               ;   in Loop: Header=BB10_5 Depth=1
	s_waitcnt lgkmcnt(0)
	v_add_f32_e32 v7, v7, v20
	ds_write_b32 v10, v7
.LBB10_26:                              ;   in Loop: Header=BB10_5 Depth=1
	s_or_b64 exec, exec, s[12:13]
	s_waitcnt lgkmcnt(0)
	s_barrier
	s_load_dword s17, s[26:27], 0xc
	s_load_dword s72, s[26:27], 0x0
	v_mov_b32_e32 v7, 0
	s_waitcnt lgkmcnt(0)
	s_bfe_u32 s12, s17, 0xa0006
	v_cmp_gt_u32_e32 vcc, s12, v0
	s_and_saveexec_b64 s[12:13], vcc
	s_cbranch_execz .LBB10_28
; %bb.27:                               ;   in Loop: Header=BB10_5 Depth=1
	ds_read_b32 v7, v1
.LBB10_28:                              ;   in Loop: Header=BB10_5 Depth=1
	s_or_b64 exec, exec, s[12:13]
	s_and_saveexec_b64 s[12:13], s[4:5]
	s_cbranch_execz .LBB10_30
; %bb.29:                               ;   in Loop: Header=BB10_5 Depth=1
	s_waitcnt lgkmcnt(0)
	ds_bpermute_b32 v6, v6, v7
	s_waitcnt lgkmcnt(0)
	v_add_f32_e32 v6, v7, v6
	ds_bpermute_b32 v4, v4, v6
	s_waitcnt lgkmcnt(0)
	v_add_f32_e32 v4, v6, v4
	;; [unrolled: 3-line block ×6, first 2 shown]
.LBB10_30:                              ;   in Loop: Header=BB10_5 Depth=1
	s_or_b64 exec, exec, s[12:13]
	s_mov_b64 s[12:13], -1
	s_mov_b64 s[64:65], -1
                                        ; implicit-def: $sgpr54_sgpr55
                                        ; implicit-def: $sgpr56_sgpr57
                                        ; implicit-def: $sgpr52_sgpr53
                                        ; implicit-def: $sgpr60_sgpr61
                                        ; implicit-def: $sgpr58_sgpr59
	s_and_saveexec_b64 s[62:63], s[8:9]
	s_cbranch_execz .LBB10_36
; %bb.31:                               ;   in Loop: Header=BB10_5 Depth=1
	v_lshlrev_b32_e32 v4, 16, v15
	s_mov_b32 s19, 0x7f800000
	v_cmp_neq_f32_e64 s[56:57], |v4|, s19
	s_mov_b64 s[58:59], -1
	s_mov_b64 s[52:53], 0
	s_mov_b64 s[60:61], 0
	;; [unrolled: 1-line block ×3, first 2 shown]
	s_and_saveexec_b64 s[54:55], s[56:57]
	s_cbranch_execz .LBB10_35
; %bb.32:                               ;   in Loop: Header=BB10_5 Depth=1
	s_waitcnt lgkmcnt(0)
	v_cmp_lt_f32_e32 vcc, 0, v7
	s_mov_b64 s[56:57], 0
	s_and_saveexec_b64 s[58:59], vcc
	s_cbranch_execz .LBB10_34
; %bb.33:                               ;   in Loop: Header=BB10_5 Depth=1
	s_lshl_b64 s[60:61], s[6:7], 1
	s_add_u32 s60, s20, s60
	s_addc_u32 s61, s21, s61
	global_load_ushort v4, v5, s[60:61]
	s_mov_b64 s[56:57], exec
	ds_write_b32 v5, v5
	s_waitcnt vmcnt(0)
	v_lshlrev_b32_e32 v4, 16, v4
	ds_write2_b32 v12, v7, v4 offset1:1
.LBB10_34:                              ;   in Loop: Header=BB10_5 Depth=1
	s_or_b64 exec, exec, s[58:59]
	s_mov_b64 s[64:65], exec
	s_xor_b64 s[58:59], exec, -1
	s_and_b64 s[60:61], s[56:57], exec
.LBB10_35:                              ;   in Loop: Header=BB10_5 Depth=1
	s_or_b64 exec, exec, s[54:55]
	s_and_b64 s[56:57], s[64:65], exec
	s_and_b64 s[54:55], s[58:59], exec
	s_orn2_b64 s[64:65], s[60:61], exec
	s_mov_b64 s[60:61], 0
	s_mov_b64 s[58:59], 0
.LBB10_36:                              ;   in Loop: Header=BB10_5 Depth=1
	s_or_b64 exec, exec, s[62:63]
	s_and_saveexec_b64 s[62:63], s[64:65]
	s_cbranch_execz .LBB10_3
; %bb.37:                               ;   in Loop: Header=BB10_5 Depth=1
	s_waitcnt lgkmcnt(0)
	s_barrier
	ds_read2_b32 v[6:7], v12 offset1:1
	s_waitcnt lgkmcnt(0)
	s_barrier
	v_cmp_neq_f32_e32 vcc, 0, v6
	s_cbranch_vccz .LBB10_67
; %bb.38:                               ;   in Loop: Header=BB10_5 Depth=1
	s_and_b32 s17, s17, 0xffff
	v_cvt_f32_u32_e32 v4, s17
	s_sub_i32 s13, 0, s17
	v_readlane_b32 s12, v23, 0
	s_add_i32 s12, s12, s17
	v_rcp_iflag_f32_e32 v4, v4
	ds_write_b8 v5, v5 offset:4
	v_mul_f32_e32 v4, 0x4f7ffffe, v4
	v_cvt_u32_f32_e32 v4, v4
	v_readfirstlane_b32 s19, v4
	s_mul_i32 s13, s13, s19
	s_mul_hi_u32 s13, s19, s13
	s_add_i32 s19, s19, s13
	s_mul_hi_u32 s13, s12, s19
	s_mul_i32 s19, s13, s17
	s_sub_i32 s12, s12, s19
	s_add_i32 s64, s13, 1
	s_sub_i32 s19, s12, s17
	s_cmp_ge_u32 s12, s17
	s_cselect_b32 s13, s64, s13
	s_cselect_b32 s12, s19, s12
	s_add_i32 s19, s13, 1
	s_cmp_ge_u32 s12, s17
	s_cselect_b32 s68, s19, s13
	s_cmp_lt_i32 s68, 1
	s_mov_b64 s[12:13], 0
	s_cbranch_scc1 .LBB10_60
; %bb.39:                               ;   in Loop: Header=BB10_5 Depth=1
	s_mul_i32 s12, s6, s16
	s_mul_hi_u32 s13, s6, s14
	s_add_i32 s12, s13, s12
	s_mul_i32 s13, s7, s14
	s_add_i32 s13, s12, s13
	s_mul_i32 s12, s6, s14
	s_lshl_b64 s[12:13], s[12:13], 1
	s_add_u32 s19, s22, s12
	v_bfe_u32 v4, v7, 16, 1
	s_addc_u32 s69, s23, s13
	v_add_u32_e32 v4, v7, v4
	s_cmp_gt_u32 s17, 1
	v_add_u32_e32 v4, 0x7fff, v4
	s_cselect_b64 s[64:65], -1, 0
	s_lshl_b32 s12, s17, 2
	v_and_b32_e32 v4, 0xffff0000, v4
	v_cmp_o_f32_e32 vcc, v7, v7
	s_add_i32 s70, s12, 8
	v_cndmask_b32_e32 v4, v13, v4, vcc
	s_add_i32 s70, s70, -4
	s_mov_b32 s71, 0
	v_mov_b32_e32 v7, 0
	s_branch .LBB10_42
.LBB10_40:                              ;   in Loop: Header=BB10_42 Depth=2
	s_or_b64 exec, exec, s[12:13]
	ds_write_b8 v5, v14 offset:4
.LBB10_41:                              ;   in Loop: Header=BB10_42 Depth=2
	s_or_b64 exec, exec, s[66:67]
	v_mov_b32_e32 v16, s70
	ds_read_b32 v16, v16
	s_waitcnt lgkmcnt(0)
	s_barrier
	ds_read_u8 v17, v5 offset:4
	s_add_i32 s71, s71, 1
	s_cmp_ge_i32 s71, s68
	s_cselect_b64 s[66:67], -1, 0
	v_add_f32_e32 v7, v7, v16
	s_waitcnt lgkmcnt(0)
	v_readfirstlane_b32 s12, v17
	s_bitcmp1_b32 s12, 0
	s_cselect_b64 s[12:13], -1, 0
	s_or_b64 s[66:67], s[66:67], s[12:13]
	s_and_b64 vcc, exec, s[66:67]
	s_cbranch_vccnz .LBB10_60
.LBB10_42:                              ;   Parent Loop BB10_5 Depth=1
                                        ; =>  This Loop Header: Depth=2
                                        ;       Child Loop BB10_47 Depth 3
                                        ;       Child Loop BB10_57 Depth 3
	s_mul_i32 s12, s71, s17
	v_add_u32_e32 v16, s12, v0
	v_cmp_gt_i32_e64 s[12:13], s33, v16
	v_mov_b32_e32 v17, 0
	s_and_saveexec_b64 s[66:67], s[12:13]
	s_cbranch_execz .LBB10_44
; %bb.43:                               ;   in Loop: Header=BB10_42 Depth=2
	v_mul_lo_u32 v18, v16, s15
	v_ashrrev_i32_e32 v19, 31, v18
	v_lshlrev_b64 v[18:19], 1, v[18:19]
	v_mov_b32_e32 v17, s69
	v_add_co_u32_e32 v18, vcc, s19, v18
	v_addc_co_u32_e32 v19, vcc, v17, v19, vcc
	global_load_ushort v17, v[18:19], off
	s_waitcnt vmcnt(0)
	v_lshlrev_b32_e32 v17, 16, v17
	v_div_scale_f32 v18, s[74:75], v6, v6, v17
	v_rcp_f32_e32 v19, v18
	v_div_scale_f32 v20, vcc, v17, v6, v17
	v_fma_f32 v21, -v18, v19, 1.0
	v_fmac_f32_e32 v19, v21, v19
	v_mul_f32_e32 v21, v20, v19
	v_fma_f32 v22, -v18, v21, v20
	v_fmac_f32_e32 v21, v22, v19
	v_fma_f32 v18, -v18, v21, v20
	v_div_fmas_f32 v18, v18, v19, v21
	v_div_fixup_f32 v17, v18, v6, v17
.LBB10_44:                              ;   in Loop: Header=BB10_42 Depth=2
	s_or_b64 exec, exec, s[66:67]
	s_andn2_b64 vcc, exec, s[64:65]
	ds_write_b32 v8, v17
	s_waitcnt lgkmcnt(0)
	s_barrier
	s_cbranch_vccnz .LBB10_51
; %bb.45:                               ;   in Loop: Header=BB10_42 Depth=2
	s_mov_b32 s73, 1
	s_branch .LBB10_47
.LBB10_46:                              ;   in Loop: Header=BB10_47 Depth=3
	s_or_b64 exec, exec, s[66:67]
	s_lshl_b32 s73, s73, 1
	s_cmp_ge_u32 s73, s17
	s_waitcnt lgkmcnt(0)
	s_barrier
	s_cbranch_scc1 .LBB10_51
.LBB10_47:                              ;   Parent Loop BB10_5 Depth=1
                                        ;     Parent Loop BB10_42 Depth=2
                                        ; =>    This Inner Loop Header: Depth=3
	v_cmp_le_u32_e32 vcc, s73, v0
	v_mov_b32_e32 v18, 0
	s_and_saveexec_b64 s[66:67], vcc
	s_cbranch_execz .LBB10_49
; %bb.48:                               ;   in Loop: Header=BB10_47 Depth=3
	v_subrev_u32_e32 v18, s73, v0
	v_lshl_add_u32 v18, v18, 2, 8
	ds_read_b32 v18, v18
	ds_read_b32 v19, v8
	s_waitcnt lgkmcnt(0)
	v_add_f32_e32 v18, v18, v19
.LBB10_49:                              ;   in Loop: Header=BB10_47 Depth=3
	s_or_b64 exec, exec, s[66:67]
	s_barrier
	s_and_saveexec_b64 s[66:67], vcc
	s_cbranch_execz .LBB10_46
; %bb.50:                               ;   in Loop: Header=BB10_47 Depth=3
	ds_write_b32 v8, v18
	s_branch .LBB10_46
.LBB10_51:                              ;   in Loop: Header=BB10_42 Depth=2
	ds_read_b32 v19, v8
	v_mov_b32_e32 v18, v7
	s_and_saveexec_b64 s[66:67], s[10:11]
	s_cbranch_execz .LBB10_53
; %bb.52:                               ;   in Loop: Header=BB10_42 Depth=2
	ds_read_b32 v18, v9
	s_waitcnt lgkmcnt(0)
	v_add_f32_e32 v18, v7, v18
.LBB10_53:                              ;   in Loop: Header=BB10_42 Depth=2
	s_or_b64 exec, exec, s[66:67]
	s_and_saveexec_b64 s[66:67], s[12:13]
	s_cbranch_execz .LBB10_41
; %bb.54:                               ;   in Loop: Header=BB10_42 Depth=2
	s_waitcnt lgkmcnt(0)
	v_add_f32_e32 v19, v7, v19
	v_bfe_u32 v20, v19, 16, 1
	v_add3_u32 v20, v19, v20, s18
	v_and_b32_e32 v20, 0xffff0000, v20
	v_cmp_o_f32_e32 vcc, v19, v19
	v_cndmask_b32_e32 v19, v13, v20, vcc
	v_cmp_nge_f32_e32 vcc, v4, v19
	s_and_b64 exec, exec, vcc
	s_cbranch_execz .LBB10_41
; %bb.55:                               ;   in Loop: Header=BB10_42 Depth=2
	v_bfe_u32 v19, v18, 16, 1
	v_add3_u32 v19, v18, v19, s18
	v_and_b32_e32 v19, 0xffff0000, v19
	v_cmp_o_f32_e32 vcc, v18, v18
	v_cndmask_b32_e32 v18, v13, v19, vcc
	v_cmp_ge_f32_e32 vcc, v4, v18
	v_cmp_lt_f32_e64 s[12:13], 0, v17
	s_and_b64 s[12:13], vcc, s[12:13]
	s_and_b64 exec, exec, s[12:13]
	s_cbranch_execz .LBB10_41
; %bb.56:                               ;   in Loop: Header=BB10_42 Depth=2
	s_mov_b64 s[12:13], exec
	s_mov_b32 s73, 0
.LBB10_57:                              ;   Parent Loop BB10_5 Depth=1
                                        ;     Parent Loop BB10_42 Depth=2
                                        ; =>    This Inner Loop Header: Depth=3
	s_ff1_i32_b64 s74, s[12:13]
	v_readlane_b32 s76, v16, s74
	s_lshl_b64 s[74:75], 1, s74
	s_max_u32 s73, s73, s76
	s_andn2_b64 s[12:13], s[12:13], s[74:75]
	s_cmp_lg_u64 s[12:13], 0
	s_cbranch_scc1 .LBB10_57
; %bb.58:                               ;   in Loop: Header=BB10_42 Depth=2
	v_mbcnt_lo_u32_b32 v16, exec_lo, 0
	v_mbcnt_hi_u32_b32 v16, exec_hi, v16
	v_cmp_eq_u32_e32 vcc, 0, v16
	s_and_saveexec_b64 s[12:13], vcc
	s_xor_b64 s[12:13], exec, s[12:13]
	s_cbranch_execz .LBB10_40
; %bb.59:                               ;   in Loop: Header=BB10_42 Depth=2
	v_mov_b32_e32 v16, s73
	ds_max_u32 v5, v16
	s_branch .LBB10_40
.LBB10_60:                              ;   in Loop: Header=BB10_5 Depth=1
	s_xor_b64 s[68:69], s[12:13], -1
	s_mov_b64 s[12:13], 0
	s_mov_b64 s[66:67], 0
	s_and_saveexec_b64 s[64:65], s[8:9]
	s_cbranch_execz .LBB10_71
; %bb.61:                               ;   in Loop: Header=BB10_5 Depth=1
	s_and_b64 vcc, exec, s[68:69]
	s_cbranch_vccz .LBB10_68
; %bb.62:                               ;   in Loop: Header=BB10_5 Depth=1
	s_mul_i32 s17, s6, s16
	s_mul_hi_u32 s19, s6, s14
	s_add_i32 s17, s19, s17
	s_mul_i32 s19, s7, s14
	s_add_i32 s67, s17, s19
	s_mul_i32 s66, s6, s14
	s_lshl_b64 s[66:67], s[66:67], 1
	s_add_u32 s19, s22, s66
	v_readlane_b32 s17, v23, 1
	s_addc_u32 s73, s23, s67
	s_mov_b32 s66, s17
	s_mov_b32 s17, s33
	s_branch .LBB10_64
.LBB10_63:                              ;   in Loop: Header=BB10_64 Depth=2
	s_ashr_i32 s67, s66, 31
	s_add_i32 s17, s17, -1
	s_lshl_b64 s[68:69], s[66:67], 1
	s_add_u32 s68, s19, s68
	s_addc_u32 s69, s73, s69
	global_load_ushort v4, v5, s[68:69]
	s_sub_i32 s66, s66, s15
	s_mov_b64 s[68:69], 0
	s_waitcnt vmcnt(0)
	v_lshlrev_b32_e32 v4, 16, v4
	v_cmp_lt_f32_e64 s[70:71], 0, v4
	s_andn2_b64 vcc, exec, s[70:71]
	s_cbranch_vccz .LBB10_66
.LBB10_64:                              ;   Parent Loop BB10_5 Depth=1
                                        ; =>  This Inner Loop Header: Depth=2
	s_cmp_lt_i32 s17, 1
	s_cbranch_scc0 .LBB10_63
; %bb.65:                               ;   in Loop: Header=BB10_5 Depth=1
	s_mov_b64 s[68:69], -1
                                        ; implicit-def: $sgpr66
                                        ; implicit-def: $sgpr17
.LBB10_66:                              ;   in Loop: Header=BB10_5 Depth=1
	s_xor_b64 s[66:67], s[68:69], -1
	v_mov_b32_e32 v4, s17
	s_branch .LBB10_70
.LBB10_67:                              ;   in Loop: Header=BB10_5 Depth=1
	s_mov_b64 s[66:67], 0
	s_and_b64 vcc, exec, s[12:13]
	s_cbranch_vccnz .LBB10_72
	s_branch .LBB10_73
.LBB10_68:                              ;   in Loop: Header=BB10_5 Depth=1
                                        ; implicit-def: $sgpr17
	v_mov_b32_e32 v4, s17
	s_cbranch_execz .LBB10_70
; %bb.69:                               ;   in Loop: Header=BB10_5 Depth=1
	ds_read_b32 v4, v5
	s_mov_b64 s[66:67], -1
.LBB10_70:                              ;   in Loop: Header=BB10_5 Depth=1
	s_and_b64 s[66:67], s[66:67], exec
.LBB10_71:                              ;   in Loop: Header=BB10_5 Depth=1
	s_or_b64 exec, exec, s[64:65]
	s_and_b64 vcc, exec, s[12:13]
	s_cbranch_vccz .LBB10_73
.LBB10_72:                              ;   in Loop: Header=BB10_5 Depth=1
	s_andn2_b64 s[12:13], s[66:67], exec
	s_and_b64 s[64:65], s[8:9], exec
	s_waitcnt lgkmcnt(0)
	v_mov_b32_e32 v4, 0
	s_or_b64 s[66:67], s[12:13], s[64:65]
.LBB10_73:                              ;   in Loop: Header=BB10_5 Depth=1
	s_and_saveexec_b64 s[12:13], s[66:67]
	s_cbranch_execz .LBB10_2
; %bb.74:                               ;   in Loop: Header=BB10_5 Depth=1
	s_lshl_b64 s[64:65], s[6:7], 3
	s_add_u32 s64, s80, s64
	s_addc_u32 s65, s81, s65
	s_waitcnt lgkmcnt(0)
	global_store_dwordx2 v5, v[4:5], s[64:65]
	s_branch .LBB10_2
.LBB10_75:
	s_or_b64 exec, exec, s[28:29]
	s_xor_b64 s[6:7], s[38:39], -1
	s_xor_b64 s[10:11], s[36:37], -1
	;; [unrolled: 1-line block ×4, first 2 shown]
	s_mov_b64 s[2:3], 0
	s_and_saveexec_b64 s[4:5], s[0:1]
	s_xor_b64 s[0:1], exec, s[4:5]
	s_cbranch_execz .LBB10_87
; %bb.76:
	s_mov_b64 s[4:5], 0
	s_and_saveexec_b64 s[2:3], s[8:9]
	s_xor_b64 s[2:3], exec, s[2:3]
	s_cbranch_execz .LBB10_85
; %bb.77:
	;; [unrolled: 5-line block ×3, first 2 shown]
	s_and_saveexec_b64 s[10:11], s[6:7]
	s_xor_b64 s[6:7], exec, s[10:11]
	s_cbranch_execz .LBB10_81
; %bb.79:
	s_and_saveexec_b64 s[10:11], s[24:25]
	s_xor_b64 s[10:11], exec, s[10:11]
	s_cbranch_execnz .LBB10_95
.LBB10_80:
	s_or_b64 exec, exec, s[10:11]
	s_and_b64 s[8:9], s[8:9], exec
.LBB10_81:
	s_andn2_saveexec_b64 s[6:7], s[6:7]
	s_cbranch_execnz .LBB10_94
.LBB10_82:
	s_or_b64 exec, exec, s[6:7]
	s_and_b64 s[8:9], s[8:9], exec
.LBB10_83:
	s_andn2_saveexec_b64 s[4:5], s[4:5]
	s_cbranch_execnz .LBB10_93
.LBB10_84:
	s_or_b64 exec, exec, s[4:5]
	s_and_b64 s[4:5], s[8:9], exec
.LBB10_85:
	s_andn2_saveexec_b64 s[2:3], s[2:3]
	s_cbranch_execnz .LBB10_92
.LBB10_86:
	s_or_b64 exec, exec, s[2:3]
	s_and_b64 s[2:3], s[4:5], exec
.LBB10_87:
	s_andn2_saveexec_b64 s[0:1], s[0:1]
	s_cbranch_execnz .LBB10_91
; %bb.88:
	s_or_b64 exec, exec, s[0:1]
	s_and_saveexec_b64 s[0:1], s[2:3]
.LBB10_89:
	; divergent unreachable
.LBB10_90:
	s_endpgm
.LBB10_91:
	s_or_b64 s[2:3], s[2:3], exec
	s_trap 2
	s_or_b64 exec, exec, s[0:1]
	s_and_saveexec_b64 s[0:1], s[2:3]
	s_cbranch_execnz .LBB10_89
	s_branch .LBB10_90
.LBB10_92:
	s_or_b64 s[4:5], s[4:5], exec
	s_trap 2
	s_branch .LBB10_86
.LBB10_93:
	s_or_b64 s[8:9], s[8:9], exec
	s_trap 2
	s_branch .LBB10_84
.LBB10_94:
	s_or_b64 s[8:9], s[8:9], exec
	s_trap 2
	s_branch .LBB10_82
.LBB10_95:
	s_mov_b64 s[8:9], exec
	s_trap 2
	s_branch .LBB10_80
	.section	.rodata,"a",@progbits
	.p2align	6, 0x0
	.amdhsa_kernel _ZN2at6native12_GLOBAL__N_121sampleMultinomialOnceIN3c108BFloat16EfEEvPlliPKT_S8_ii
		.amdhsa_group_segment_fixed_size 8
		.amdhsa_private_segment_fixed_size 0
		.amdhsa_kernarg_size 304
		.amdhsa_user_sgpr_count 6
		.amdhsa_user_sgpr_private_segment_buffer 1
		.amdhsa_user_sgpr_dispatch_ptr 0
		.amdhsa_user_sgpr_queue_ptr 0
		.amdhsa_user_sgpr_kernarg_segment_ptr 1
		.amdhsa_user_sgpr_dispatch_id 0
		.amdhsa_user_sgpr_flat_scratch_init 0
		.amdhsa_user_sgpr_kernarg_preload_length 0
		.amdhsa_user_sgpr_kernarg_preload_offset 0
		.amdhsa_user_sgpr_private_segment_size 0
		.amdhsa_uses_dynamic_stack 0
		.amdhsa_system_sgpr_private_segment_wavefront_offset 0
		.amdhsa_system_sgpr_workgroup_id_x 1
		.amdhsa_system_sgpr_workgroup_id_y 0
		.amdhsa_system_sgpr_workgroup_id_z 0
		.amdhsa_system_sgpr_workgroup_info 0
		.amdhsa_system_vgpr_workitem_id 0
		.amdhsa_next_free_vgpr 24
		.amdhsa_next_free_sgpr 96
		.amdhsa_accum_offset 24
		.amdhsa_reserve_vcc 1
		.amdhsa_reserve_flat_scratch 0
		.amdhsa_float_round_mode_32 0
		.amdhsa_float_round_mode_16_64 0
		.amdhsa_float_denorm_mode_32 3
		.amdhsa_float_denorm_mode_16_64 3
		.amdhsa_dx10_clamp 1
		.amdhsa_ieee_mode 1
		.amdhsa_fp16_overflow 0
		.amdhsa_tg_split 0
		.amdhsa_exception_fp_ieee_invalid_op 0
		.amdhsa_exception_fp_denorm_src 0
		.amdhsa_exception_fp_ieee_div_zero 0
		.amdhsa_exception_fp_ieee_overflow 0
		.amdhsa_exception_fp_ieee_underflow 0
		.amdhsa_exception_fp_ieee_inexact 0
		.amdhsa_exception_int_div_zero 0
	.end_amdhsa_kernel
	.section	.text._ZN2at6native12_GLOBAL__N_121sampleMultinomialOnceIN3c108BFloat16EfEEvPlliPKT_S8_ii,"axG",@progbits,_ZN2at6native12_GLOBAL__N_121sampleMultinomialOnceIN3c108BFloat16EfEEvPlliPKT_S8_ii,comdat
.Lfunc_end10:
	.size	_ZN2at6native12_GLOBAL__N_121sampleMultinomialOnceIN3c108BFloat16EfEEvPlliPKT_S8_ii, .Lfunc_end10-_ZN2at6native12_GLOBAL__N_121sampleMultinomialOnceIN3c108BFloat16EfEEvPlliPKT_S8_ii
                                        ; -- End function
	.section	.AMDGPU.csdata,"",@progbits
; Kernel info:
; codeLenInByte = 3288
; NumSgprs: 100
; NumVgprs: 24
; NumAgprs: 0
; TotalNumVgprs: 24
; ScratchSize: 0
; MemoryBound: 0
; FloatMode: 240
; IeeeMode: 1
; LDSByteSize: 8 bytes/workgroup (compile time only)
; SGPRBlocks: 12
; VGPRBlocks: 2
; NumSGPRsForWavesPerEU: 100
; NumVGPRsForWavesPerEU: 24
; AccumOffset: 24
; Occupancy: 8
; WaveLimiterHint : 0
; COMPUTE_PGM_RSRC2:SCRATCH_EN: 0
; COMPUTE_PGM_RSRC2:USER_SGPR: 6
; COMPUTE_PGM_RSRC2:TRAP_HANDLER: 0
; COMPUTE_PGM_RSRC2:TGID_X_EN: 1
; COMPUTE_PGM_RSRC2:TGID_Y_EN: 0
; COMPUTE_PGM_RSRC2:TGID_Z_EN: 0
; COMPUTE_PGM_RSRC2:TIDIG_COMP_CNT: 0
; COMPUTE_PGM_RSRC3_GFX90A:ACCUM_OFFSET: 5
; COMPUTE_PGM_RSRC3_GFX90A:TG_SPLIT: 0
	.section	.text._ZN2at6native12_GLOBAL__N_132sampleMultinomialWithReplacementIN3c108BFloat16EEEvNS_15PhiloxCudaStateEiPlliPKT_S9_,"axG",@progbits,_ZN2at6native12_GLOBAL__N_132sampleMultinomialWithReplacementIN3c108BFloat16EEEvNS_15PhiloxCudaStateEiPlliPKT_S9_,comdat
	.globl	_ZN2at6native12_GLOBAL__N_132sampleMultinomialWithReplacementIN3c108BFloat16EEEvNS_15PhiloxCudaStateEiPlliPKT_S9_ ; -- Begin function _ZN2at6native12_GLOBAL__N_132sampleMultinomialWithReplacementIN3c108BFloat16EEEvNS_15PhiloxCudaStateEiPlliPKT_S9_
	.p2align	8
	.type	_ZN2at6native12_GLOBAL__N_132sampleMultinomialWithReplacementIN3c108BFloat16EEEvNS_15PhiloxCudaStateEiPlliPKT_S9_,@function
_ZN2at6native12_GLOBAL__N_132sampleMultinomialWithReplacementIN3c108BFloat16EEEvNS_15PhiloxCudaStateEiPlliPKT_S9_: ; @_ZN2at6native12_GLOBAL__N_132sampleMultinomialWithReplacementIN3c108BFloat16EEEvNS_15PhiloxCudaStateEiPlliPKT_S9_
; %bb.0:
	s_mov_b32 s16, s7
	s_load_dword s7, s[4:5], 0x18
	s_load_dwordx4 s[0:3], s[4:5], 0x0
	s_mov_b32 s17, 0
	s_waitcnt lgkmcnt(0)
	s_bitcmp0_b32 s7, 0
	v_pk_mov_b32 v[6:7], s[2:3], s[2:3] op_sel:[0,1]
	v_pk_mov_b32 v[2:3], s[0:1], s[0:1] op_sel:[0,1]
	s_cbranch_scc1 .LBB11_2
; %bb.1:
	v_pk_mov_b32 v[2:3], s[2:3], s[2:3] op_sel:[0,1]
	flat_load_dwordx2 v[4:5], v[2:3]
	v_pk_mov_b32 v[2:3], s[0:1], s[0:1] op_sel:[0,1]
	flat_load_dwordx2 v[2:3], v[2:3]
	s_load_dwordx2 s[0:1], s[4:5], 0x10
	s_waitcnt lgkmcnt(0)
	v_mov_b32_e32 v1, s1
	s_waitcnt vmcnt(0)
	v_add_co_u32_e32 v6, vcc, s0, v4
	v_addc_co_u32_e32 v7, vcc, v5, v1, vcc
.LBB11_2:
	s_load_dwordx4 s[8:11], s[4:5], 0x28
	s_waitcnt lgkmcnt(0)
	v_pk_mov_b32 v[4:5], s[10:11], s[10:11] op_sel:[0,1]
	v_cmp_ge_i64_e32 vcc, s[16:17], v[4:5]
	s_cbranch_vccnz .LBB11_36
; %bb.3:
	v_mov_b32_e32 v4, v3
	s_mov_b32 s0, 0xdb3d7428
	v_add_co_u32_e32 v13, vcc, s0, v4
	s_mov_b32 s0, 0x5384540f
	v_add_co_u32_e32 v14, vcc, s0, v2
	;; [unrolled: 2-line block ×6, first 2 shown]
	s_mov_b32 s0, 0x76cf5d0a
	s_load_dword s33, s[4:5], 0x20
	s_load_dword s18, s[4:5], 0x38
	v_add_co_u32_e32 v19, vcc, s0, v4
	s_mov_b32 s0, 0x9e3779b9
	v_alignbit_b32 v21, v7, v6, 2
	s_mov_b32 s44, 0xd2511f53
	s_load_dwordx4 s[12:15], s[4:5], 0x40
	s_load_dword s48, s[4:5], 0x50
	v_add_co_u32_e32 v20, vcc, s0, v2
	v_mad_u64_u32 v[8:9], s[0:1], v21, s44, 0
	s_load_dword s0, s[4:5], 0x5c
	s_waitcnt lgkmcnt(0)
	s_ashr_i32 s19, s18, 31
	s_add_u32 s4, s4, 0x50
	s_mul_i32 s1, s48, s16
	s_addc_u32 s5, s5, 0
	s_add_i32 s1, s1, s6
	s_and_b32 s2, s0, 0xffff
	s_mul_i32 s1, s1, s2
	v_add_u32_e32 v22, s1, v0
	v_xor_b32_e32 v5, v9, v3
	v_ashrrev_i32_e32 v23, 31, v22
	v_xor_b32_e32 v5, v5, v23
	s_mov_b32 s45, 0xcd9e8d57
	v_mad_u64_u32 v[28:29], s[0:1], v5, s45, 0
	v_xor_b32_e32 v5, v20, v29
	v_mad_u64_u32 v[24:25], s[0:1], v22, s45, 0
	v_and_b32_e32 v10, 3, v6
	v_xor_b32_e32 v5, v5, v24
	v_xor_b32_e32 v6, v2, v25
	v_lshrrev_b32_e32 v25, 2, v7
	v_mad_u64_u32 v[30:31], s[0:1], v5, s44, 0
	v_xor_b32_e32 v6, v6, v25
	v_xor_b32_e32 v5, v19, v31
	v_mad_u64_u32 v[6:7], s[0:1], v6, s44, 0
	v_xor_b32_e32 v5, v5, v6
	v_mad_u64_u32 v[32:33], s[0:1], v5, s45, 0
	s_mov_b32 s0, 0xbb67ae85
	v_add_co_u32_e32 v24, vcc, s0, v4
	v_xor_b32_e32 v6, v24, v7
	v_xor_b32_e32 v6, v6, v8
	v_xor_b32_e32 v5, v18, v33
	v_mad_u64_u32 v[6:7], s[0:1], v6, s45, 0
	v_xor_b32_e32 v5, v5, v6
	v_mad_u64_u32 v[8:9], s[0:1], v5, s44, 0
	s_mov_b32 s0, 0x3c6ef372
	v_add_co_u32_e32 v26, vcc, s0, v2
	v_xor_b32_e32 v6, v26, v7
	;; [unrolled: 8-line block ×7, first 2 shown]
	v_xor_b32_e32 v4, v4, v36
	v_mad_u64_u32 v[4:5], s[0:1], v4, s45, 0
	s_mov_b32 s0, 0xf1bbcdc8
	v_add_u32_e32 v11, 0x8ff34781, v2
	v_xor_b32_e32 v4, v7, v4
	v_add_co_u32_e32 v32, vcc, s0, v2
	v_xor_b32_e32 v7, v11, v4
	v_xor_b32_e32 v4, v32, v5
	;; [unrolled: 1-line block ×3, first 2 shown]
	v_mad_u64_u32 v[4:5], s[0:1], v4, s44, 0
	s_mul_i32 s6, s6, s2
	v_add_u32_e32 v12, 0x96a522ad, v3
	v_xor_b32_e32 v5, v5, v8
	v_add_u32_e32 v33, s6, v0
	v_mov_b32_e32 v1, 0
	s_mov_b64 s[20:21], 0
	v_cmp_gt_i64_e64 s[22:23], s[18:19], 0
	v_xor_b32_e32 v5, v12, v5
	v_cmp_gt_i32_e64 s[0:1], s33, v33
	s_add_i32 s46, s18, -1
	s_ashr_i32 s47, s33, 31
	s_mul_i32 s48, s48, s2
	s_movk_i32 s49, 0x7fff
                                        ; implicit-def: $sgpr6_sgpr7
                                        ; implicit-def: $sgpr24_sgpr25
	s_branch .LBB11_5
.LBB11_4:                               ;   in Loop: Header=BB11_5 Depth=1
	s_or_b64 exec, exec, s[28:29]
	s_and_b64 s[2:3], exec, s[26:27]
	s_or_b64 s[20:21], s[2:3], s[20:21]
	s_andn2_b64 s[2:3], s[6:7], exec
	s_and_b64 s[6:7], s[24:25], exec
	s_or_b64 s[6:7], s[2:3], s[6:7]
	s_andn2_b64 exec, exec, s[20:21]
	s_cbranch_execz .LBB11_35
.LBB11_5:                               ; =>This Loop Header: Depth=1
                                        ;     Child Loop BB11_9 Depth 2
                                        ;       Child Loop BB11_22 Depth 3
                                        ;       Child Loop BB11_28 Depth 3
	s_mov_b64 s[2:3], -1
                                        ; implicit-def: $sgpr28_sgpr29
	s_and_saveexec_b64 s[26:27], s[0:1]
	s_cbranch_execz .LBB11_33
; %bb.6:                                ;   in Loop: Header=BB11_5 Depth=1
	s_mul_i32 s2, s16, s19
	s_mul_hi_u32 s3, s16, s18
	s_add_i32 s2, s3, s2
	s_mul_i32 s3, s17, s18
	s_add_i32 s3, s2, s3
	s_mul_i32 s2, s16, s18
	s_lshl_b64 s[2:3], s[2:3], 1
	s_add_u32 s50, s12, s2
	s_addc_u32 s51, s13, s3
	s_add_u32 s52, s14, s2
	s_addc_u32 s53, s15, s3
	s_lshl_b64 s[2:3], s[18:19], 1
	s_add_u32 s28, s50, s2
	s_addc_u32 s29, s51, s3
	s_mul_i32 s2, s16, s47
	s_mul_hi_u32 s3, s16, s33
	s_add_i32 s2, s3, s2
	s_mul_i32 s3, s17, s33
	s_add_i32 s3, s2, s3
	s_mul_i32 s2, s16, s33
	s_lshl_b64 s[2:3], s[2:3], 3
	s_add_u32 s54, s8, s2
	s_addc_u32 s55, s9, s3
	s_mov_b64 s[34:35], 0
	v_mov_b32_e32 v8, v33
                                        ; implicit-def: $sgpr30_sgpr31
                                        ; implicit-def: $sgpr36_sgpr37
	s_branch .LBB11_9
.LBB11_7:                               ;   in Loop: Header=BB11_9 Depth=2
	s_mov_b64 s[2:3], -1
	s_mov_b64 s[38:39], -1
                                        ; implicit-def: $vgpr8
                                        ; implicit-def: $vgpr7
                                        ; implicit-def: $vgpr6
                                        ; implicit-def: $vgpr5
                                        ; implicit-def: $vgpr4
                                        ; implicit-def: $vgpr21
                                        ; implicit-def: $vgpr25
                                        ; implicit-def: $vgpr22
                                        ; implicit-def: $vgpr23
.LBB11_8:                               ;   in Loop: Header=BB11_9 Depth=2
	s_xor_b64 s[38:39], s[38:39], -1
	s_and_b64 s[40:41], exec, s[2:3]
	s_or_b64 s[34:35], s[40:41], s[34:35]
	s_andn2_b64 s[36:37], s[36:37], exec
	s_and_b64 s[2:3], s[2:3], exec
	s_or_b64 s[36:37], s[36:37], s[2:3]
	s_andn2_b64 s[2:3], s[30:31], exec
	s_and_b64 s[30:31], s[38:39], exec
	s_or_b64 s[30:31], s[2:3], s[30:31]
	s_andn2_b64 exec, exec, s[34:35]
	s_cbranch_execz .LBB11_32
.LBB11_9:                               ;   Parent Loop BB11_5 Depth=1
                                        ; =>  This Loop Header: Depth=2
                                        ;       Child Loop BB11_22 Depth 3
                                        ;       Child Loop BB11_28 Depth 3
	v_add_co_u32_e32 v21, vcc, 1, v21
	v_cndmask_b32_e64 v0, 0, 1, vcc
	v_addc_co_u32_e32 v25, vcc, 0, v25, vcc
	v_cmp_eq_u32_e32 vcc, 0, v25
	v_cndmask_b32_e32 v9, 0, v0, vcc
	v_add_u32_e32 v22, v9, v22
	v_cmp_eq_u32_e64 s[2:3], 0, v22
	v_cmp_lt_i32_e32 vcc, 1, v10
	s_and_saveexec_b64 s[38:39], vcc
	s_xor_b64 s[38:39], exec, s[38:39]
	s_cbranch_execz .LBB11_15
; %bb.10:                               ;   in Loop: Header=BB11_9 Depth=2
	v_cmp_lt_i32_e32 vcc, 2, v10
	s_and_saveexec_b64 s[40:41], vcc
	s_xor_b64 s[40:41], exec, s[40:41]
; %bb.11:                               ;   in Loop: Header=BB11_9 Depth=2
                                        ; implicit-def: $vgpr5
; %bb.12:                               ;   in Loop: Header=BB11_9 Depth=2
	s_andn2_saveexec_b64 s[40:41], s[40:41]
; %bb.13:                               ;   in Loop: Header=BB11_9 Depth=2
	v_mov_b32_e32 v4, v5
; %bb.14:                               ;   in Loop: Header=BB11_9 Depth=2
	s_or_b64 exec, exec, s[40:41]
                                        ; implicit-def: $vgpr7
                                        ; implicit-def: $vgpr6
.LBB11_15:                              ;   in Loop: Header=BB11_9 Depth=2
	s_andn2_saveexec_b64 s[38:39], s[38:39]
	s_cbranch_execz .LBB11_19
; %bb.16:                               ;   in Loop: Header=BB11_9 Depth=2
	v_cmp_eq_u32_e32 vcc, 1, v10
	s_and_saveexec_b64 s[40:41], vcc
; %bb.17:                               ;   in Loop: Header=BB11_9 Depth=2
	v_mov_b32_e32 v7, v6
; %bb.18:                               ;   in Loop: Header=BB11_9 Depth=2
	s_or_b64 exec, exec, s[40:41]
	v_mov_b32_e32 v4, v7
.LBB11_19:                              ;   in Loop: Header=BB11_9 Depth=2
	s_or_b64 exec, exec, s[38:39]
	global_load_ushort v0, v1, s[28:29] offset:-2
	s_waitcnt vmcnt(0)
	v_lshlrev_b32_e32 v0, 16, v0
	v_cmp_nlt_f32_e32 vcc, 0, v0
	s_cbranch_vccnz .LBB11_7
; %bb.20:                               ;   in Loop: Header=BB11_9 Depth=2
	s_andn2_b64 vcc, exec, s[22:23]
	s_cbranch_vccnz .LBB11_24
; %bb.21:                               ;   in Loop: Header=BB11_9 Depth=2
	v_cvt_f32_u32_e32 v4, v4
	v_mov_b32_e32 v5, 0x2f800000
	s_mov_b64 s[38:39], 0
	v_mov_b32_e32 v0, s18
	v_fmac_f32_e32 v5, 0x2f800000, v4
	v_bfe_u32 v4, v5, 16, 1
	v_add3_u32 v4, v5, v4, s49
	v_and_b32_e32 v4, 0xffff0000, v4
	v_mov_b32_e32 v34, 0
	v_mov_b32_e32 v5, s18
.LBB11_22:                              ;   Parent Loop BB11_5 Depth=1
                                        ;     Parent Loop BB11_9 Depth=2
                                        ; =>    This Inner Loop Header: Depth=3
	v_lshrrev_b32_e32 v0, 1, v0
	v_add_u32_e32 v0, v0, v34
	v_lshlrev_b64 v[6:7], 1, v[0:1]
	v_mov_b32_e32 v35, s51
	v_add_co_u32_e32 v6, vcc, s50, v6
	v_addc_co_u32_e32 v7, vcc, v35, v7, vcc
	global_load_ushort v6, v[6:7], off
	v_add_u32_e32 v7, 1, v0
	s_waitcnt vmcnt(0)
	v_lshlrev_b32_e32 v6, 16, v6
	v_cmp_lt_f32_e32 vcc, v6, v4
	v_cndmask_b32_e32 v5, v0, v5, vcc
	v_cndmask_b32_e32 v34, v34, v7, vcc
	v_sub_u32_e32 v0, v5, v34
	v_cmp_gt_i32_e32 vcc, 1, v0
	s_or_b64 s[38:39], vcc, s[38:39]
	s_andn2_b64 exec, exec, s[38:39]
	s_cbranch_execnz .LBB11_22
; %bb.23:                               ;   in Loop: Header=BB11_9 Depth=2
	s_or_b64 exec, exec, s[38:39]
	s_branch .LBB11_25
.LBB11_24:                              ;   in Loop: Header=BB11_9 Depth=2
	v_mov_b32_e32 v34, 0
.LBB11_25:                              ;   in Loop: Header=BB11_9 Depth=2
	v_cndmask_b32_e64 v0, 0, v9, s[2:3]
	v_mad_u64_u32 v[4:5], s[2:3], v21, s44, 0
	v_add_u32_e32 v23, v0, v23
	v_mad_u64_u32 v[6:7], s[2:3], v22, s45, 0
	v_xor_b32_e32 v5, v5, v3
	v_xor_b32_e32 v0, v7, v2
	v_xor_b32_e32 v5, v23, v5
	v_xor_b32_e32 v0, v25, v0
	v_mad_u64_u32 v[38:39], s[2:3], v5, s45, 0
	v_mad_u64_u32 v[36:37], s[2:3], v0, s44, 0
	v_xor_b32_e32 v0, v20, v39
	v_xor_b32_e32 v0, v0, v6
	v_xor_b32_e32 v5, v24, v37
	v_xor_b32_e32 v6, v5, v4
	v_mad_u64_u32 v[4:5], s[2:3], v0, s44, 0
	;; [unrolled: 6-line block ×9, first 2 shown]
	v_mad_u64_u32 v[4:5], s[2:3], v0, s44, 0
	v_xor_b32_e32 v0, v7, v42
	v_xor_b32_e32 v7, v11, v0
	;; [unrolled: 1-line block ×4, first 2 shown]
	v_mov_b32_e32 v0, s46
	v_cmp_eq_u32_e32 vcc, s18, v34
	v_cndmask_b32_e32 v0, v34, v0, vcc
	v_cmp_lt_i32_e32 vcc, 0, v0
	s_and_saveexec_b64 s[2:3], vcc
	s_cbranch_execz .LBB11_31
; %bb.26:                               ;   in Loop: Header=BB11_9 Depth=2
	s_mov_b64 s[38:39], 0
                                        ; implicit-def: $sgpr40_sgpr41
	s_branch .LBB11_28
.LBB11_27:                              ;   in Loop: Header=BB11_28 Depth=3
	s_or_b64 exec, exec, s[42:43]
	s_and_b64 s[42:43], exec, s[40:41]
	v_mov_b32_e32 v34, v0
	s_or_b64 s[38:39], s[42:43], s[38:39]
	v_mov_b32_e32 v0, v9
	s_andn2_b64 exec, exec, s[38:39]
	s_cbranch_execz .LBB11_30
.LBB11_28:                              ;   Parent Loop BB11_5 Depth=1
                                        ;     Parent Loop BB11_9 Depth=2
                                        ; =>    This Inner Loop Header: Depth=3
	v_lshlrev_b64 v[34:35], 1, v[0:1]
	v_mov_b32_e32 v9, s53
	v_add_co_u32_e32 v34, vcc, s52, v34
	v_addc_co_u32_e32 v35, vcc, v9, v35, vcc
	global_load_ushort v9, v[34:35], off
	s_or_b64 s[40:41], s[40:41], exec
	s_waitcnt vmcnt(0)
	v_and_b32_e32 v9, 0x7fff, v9
	v_cmp_eq_u16_e32 vcc, 0, v9
                                        ; implicit-def: $vgpr9
	s_and_saveexec_b64 s[42:43], vcc
	s_cbranch_execz .LBB11_27
; %bb.29:                               ;   in Loop: Header=BB11_28 Depth=3
	v_cmp_gt_u32_e32 vcc, 2, v0
	s_andn2_b64 s[40:41], s[40:41], exec
	s_and_b64 s[56:57], vcc, exec
	v_add_u32_e32 v9, -1, v0
	v_mov_b32_e32 v0, 0
	s_or_b64 s[40:41], s[40:41], s[56:57]
	s_branch .LBB11_27
.LBB11_30:                              ;   in Loop: Header=BB11_9 Depth=2
	s_or_b64 exec, exec, s[38:39]
	v_mov_b32_e32 v0, v34
.LBB11_31:                              ;   in Loop: Header=BB11_9 Depth=2
	s_or_b64 exec, exec, s[2:3]
	v_ashrrev_i32_e32 v9, 31, v8
	v_lshlrev_b64 v[36:37], 3, v[8:9]
	v_ashrrev_i32_e32 v35, 31, v0
	v_mov_b32_e32 v34, v0
	v_mov_b32_e32 v0, s55
	v_add_co_u32_e32 v36, vcc, s54, v36
	v_addc_co_u32_e32 v37, vcc, v0, v37, vcc
	v_add_u32_e32 v8, s48, v8
	global_store_dwordx2 v[36:37], v[34:35], off
	v_cmp_le_i32_e64 s[2:3], s33, v8
	s_mov_b64 s[38:39], 0
	s_branch .LBB11_8
.LBB11_32:                              ;   in Loop: Header=BB11_5 Depth=1
	s_or_b64 exec, exec, s[34:35]
	s_and_b64 s[28:29], s[36:37], exec
	s_orn2_b64 s[2:3], s[30:31], exec
.LBB11_33:                              ;   in Loop: Header=BB11_5 Depth=1
	s_or_b64 exec, exec, s[26:27]
	s_andn2_b64 s[24:25], s[24:25], exec
	s_and_b64 s[28:29], s[28:29], exec
	s_mov_b64 s[26:27], -1
	s_or_b64 s[24:25], s[24:25], s[28:29]
	s_and_saveexec_b64 s[28:29], s[2:3]
	s_cbranch_execz .LBB11_4
; %bb.34:                               ;   in Loop: Header=BB11_5 Depth=1
	s_load_dword s2, s[4:5], 0x4
	v_pk_mov_b32 v[8:9], s[10:11], s[10:11] op_sel:[0,1]
	s_waitcnt lgkmcnt(0)
	s_add_u32 s16, s16, s2
	s_addc_u32 s17, s17, 0
	v_cmp_ge_i64_e32 vcc, s[16:17], v[8:9]
	s_andn2_b64 s[24:25], s[24:25], exec
	s_orn2_b64 s[26:27], vcc, exec
	s_branch .LBB11_4
.LBB11_35:
	s_or_b64 exec, exec, s[20:21]
	s_and_saveexec_b64 s[0:1], s[6:7]
	s_xor_b64 s[0:1], exec, s[0:1]
	s_cbranch_execnz .LBB11_37
.LBB11_36:
	s_endpgm
.LBB11_37:
	s_trap 2
	; divergent unreachable
	s_endpgm
	.section	.rodata,"a",@progbits
	.p2align	6, 0x0
	.amdhsa_kernel _ZN2at6native12_GLOBAL__N_132sampleMultinomialWithReplacementIN3c108BFloat16EEEvNS_15PhiloxCudaStateEiPlliPKT_S9_
		.amdhsa_group_segment_fixed_size 0
		.amdhsa_private_segment_fixed_size 0
		.amdhsa_kernarg_size 336
		.amdhsa_user_sgpr_count 6
		.amdhsa_user_sgpr_private_segment_buffer 1
		.amdhsa_user_sgpr_dispatch_ptr 0
		.amdhsa_user_sgpr_queue_ptr 0
		.amdhsa_user_sgpr_kernarg_segment_ptr 1
		.amdhsa_user_sgpr_dispatch_id 0
		.amdhsa_user_sgpr_flat_scratch_init 0
		.amdhsa_user_sgpr_kernarg_preload_length 0
		.amdhsa_user_sgpr_kernarg_preload_offset 0
		.amdhsa_user_sgpr_private_segment_size 0
		.amdhsa_uses_dynamic_stack 0
		.amdhsa_system_sgpr_private_segment_wavefront_offset 0
		.amdhsa_system_sgpr_workgroup_id_x 1
		.amdhsa_system_sgpr_workgroup_id_y 1
		.amdhsa_system_sgpr_workgroup_id_z 0
		.amdhsa_system_sgpr_workgroup_info 0
		.amdhsa_system_vgpr_workitem_id 0
		.amdhsa_next_free_vgpr 44
		.amdhsa_next_free_sgpr 58
		.amdhsa_accum_offset 44
		.amdhsa_reserve_vcc 1
		.amdhsa_reserve_flat_scratch 0
		.amdhsa_float_round_mode_32 0
		.amdhsa_float_round_mode_16_64 0
		.amdhsa_float_denorm_mode_32 3
		.amdhsa_float_denorm_mode_16_64 3
		.amdhsa_dx10_clamp 1
		.amdhsa_ieee_mode 1
		.amdhsa_fp16_overflow 0
		.amdhsa_tg_split 0
		.amdhsa_exception_fp_ieee_invalid_op 0
		.amdhsa_exception_fp_denorm_src 0
		.amdhsa_exception_fp_ieee_div_zero 0
		.amdhsa_exception_fp_ieee_overflow 0
		.amdhsa_exception_fp_ieee_underflow 0
		.amdhsa_exception_fp_ieee_inexact 0
		.amdhsa_exception_int_div_zero 0
	.end_amdhsa_kernel
	.section	.text._ZN2at6native12_GLOBAL__N_132sampleMultinomialWithReplacementIN3c108BFloat16EEEvNS_15PhiloxCudaStateEiPlliPKT_S9_,"axG",@progbits,_ZN2at6native12_GLOBAL__N_132sampleMultinomialWithReplacementIN3c108BFloat16EEEvNS_15PhiloxCudaStateEiPlliPKT_S9_,comdat
.Lfunc_end11:
	.size	_ZN2at6native12_GLOBAL__N_132sampleMultinomialWithReplacementIN3c108BFloat16EEEvNS_15PhiloxCudaStateEiPlliPKT_S9_, .Lfunc_end11-_ZN2at6native12_GLOBAL__N_132sampleMultinomialWithReplacementIN3c108BFloat16EEEvNS_15PhiloxCudaStateEiPlliPKT_S9_
                                        ; -- End function
	.section	.AMDGPU.csdata,"",@progbits
; Kernel info:
; codeLenInByte = 1996
; NumSgprs: 62
; NumVgprs: 44
; NumAgprs: 0
; TotalNumVgprs: 44
; ScratchSize: 0
; MemoryBound: 0
; FloatMode: 240
; IeeeMode: 1
; LDSByteSize: 0 bytes/workgroup (compile time only)
; SGPRBlocks: 7
; VGPRBlocks: 5
; NumSGPRsForWavesPerEU: 62
; NumVGPRsForWavesPerEU: 44
; AccumOffset: 44
; Occupancy: 8
; WaveLimiterHint : 0
; COMPUTE_PGM_RSRC2:SCRATCH_EN: 0
; COMPUTE_PGM_RSRC2:USER_SGPR: 6
; COMPUTE_PGM_RSRC2:TRAP_HANDLER: 0
; COMPUTE_PGM_RSRC2:TGID_X_EN: 1
; COMPUTE_PGM_RSRC2:TGID_Y_EN: 1
; COMPUTE_PGM_RSRC2:TGID_Z_EN: 0
; COMPUTE_PGM_RSRC2:TIDIG_COMP_CNT: 0
; COMPUTE_PGM_RSRC3_GFX90A:ACCUM_OFFSET: 10
; COMPUTE_PGM_RSRC3_GFX90A:TG_SPLIT: 0
	.text
	.p2alignl 6, 3212836864
	.fill 256, 4, 3212836864
	.type	__hip_cuid_20f0709b7e84a516,@object ; @__hip_cuid_20f0709b7e84a516
	.section	.bss,"aw",@nobits
	.globl	__hip_cuid_20f0709b7e84a516
__hip_cuid_20f0709b7e84a516:
	.byte	0                               ; 0x0
	.size	__hip_cuid_20f0709b7e84a516, 1

	.ident	"AMD clang version 19.0.0git (https://github.com/RadeonOpenCompute/llvm-project roc-6.4.0 25133 c7fe45cf4b819c5991fe208aaa96edf142730f1d)"
	.section	".note.GNU-stack","",@progbits
	.addrsig
	.addrsig_sym __hip_cuid_20f0709b7e84a516
	.amdgpu_metadata
---
amdhsa.kernels:
  - .agpr_count:     0
    .args:
      - .address_space:  global
        .offset:         0
        .size:           8
        .value_kind:     global_buffer
      - .offset:         8
        .size:           8
        .value_kind:     by_value
      - .offset:         16
        .size:           8
        .value_kind:     by_value
      - .offset:         24
        .size:           4
        .value_kind:     hidden_block_count_x
      - .offset:         28
        .size:           4
        .value_kind:     hidden_block_count_y
      - .offset:         32
        .size:           4
        .value_kind:     hidden_block_count_z
      - .offset:         36
        .size:           2
        .value_kind:     hidden_group_size_x
      - .offset:         38
        .size:           2
        .value_kind:     hidden_group_size_y
      - .offset:         40
        .size:           2
        .value_kind:     hidden_group_size_z
      - .offset:         42
        .size:           2
        .value_kind:     hidden_remainder_x
      - .offset:         44
        .size:           2
        .value_kind:     hidden_remainder_y
      - .offset:         46
        .size:           2
        .value_kind:     hidden_remainder_z
      - .offset:         64
        .size:           8
        .value_kind:     hidden_global_offset_x
      - .offset:         72
        .size:           8
        .value_kind:     hidden_global_offset_y
      - .offset:         80
        .size:           8
        .value_kind:     hidden_global_offset_z
      - .offset:         88
        .size:           2
        .value_kind:     hidden_grid_dims
      - .offset:         144
        .size:           4
        .value_kind:     hidden_dynamic_lds_size
    .group_segment_fixed_size: 0
    .kernarg_segment_align: 8
    .kernarg_segment_size: 280
    .language:       OpenCL C
    .language_version:
      - 2
      - 0
    .max_flat_workgroup_size: 1024
    .name:           _ZN2at6native12_GLOBAL__N_112renormRowsL1IdEEvPT_ll
    .private_segment_fixed_size: 0
    .sgpr_count:     62
    .sgpr_spill_count: 0
    .symbol:         _ZN2at6native12_GLOBAL__N_112renormRowsL1IdEEvPT_ll.kd
    .uniform_work_group_size: 1
    .uses_dynamic_stack: false
    .vgpr_count:     27
    .vgpr_spill_count: 0
    .wavefront_size: 64
  - .agpr_count:     0
    .args:
      - .address_space:  global
        .offset:         0
        .size:           8
        .value_kind:     global_buffer
      - .offset:         8
        .size:           8
        .value_kind:     by_value
      - .offset:         16
        .size:           8
        .value_kind:     by_value
      - .offset:         24
        .size:           4
        .value_kind:     hidden_block_count_x
      - .offset:         28
        .size:           4
        .value_kind:     hidden_block_count_y
      - .offset:         32
        .size:           4
        .value_kind:     hidden_block_count_z
      - .offset:         36
        .size:           2
        .value_kind:     hidden_group_size_x
      - .offset:         38
        .size:           2
        .value_kind:     hidden_group_size_y
      - .offset:         40
        .size:           2
        .value_kind:     hidden_group_size_z
      - .offset:         42
        .size:           2
        .value_kind:     hidden_remainder_x
      - .offset:         44
        .size:           2
        .value_kind:     hidden_remainder_y
      - .offset:         46
        .size:           2
        .value_kind:     hidden_remainder_z
      - .offset:         64
        .size:           8
        .value_kind:     hidden_global_offset_x
      - .offset:         72
        .size:           8
        .value_kind:     hidden_global_offset_y
      - .offset:         80
        .size:           8
        .value_kind:     hidden_global_offset_z
      - .offset:         88
        .size:           2
        .value_kind:     hidden_grid_dims
      - .offset:         144
        .size:           4
        .value_kind:     hidden_dynamic_lds_size
    .group_segment_fixed_size: 0
    .kernarg_segment_align: 8
    .kernarg_segment_size: 280
    .language:       OpenCL C
    .language_version:
      - 2
      - 0
    .max_flat_workgroup_size: 1024
    .name:           _ZN2at6native12_GLOBAL__N_112renormRowsL1IfEEvPT_ll
    .private_segment_fixed_size: 0
    .sgpr_count:     66
    .sgpr_spill_count: 0
    .symbol:         _ZN2at6native12_GLOBAL__N_112renormRowsL1IfEEvPT_ll.kd
    .uniform_work_group_size: 1
    .uses_dynamic_stack: false
    .vgpr_count:     36
    .vgpr_spill_count: 0
    .wavefront_size: 64
  - .agpr_count:     0
    .args:
      - .address_space:  global
        .offset:         0
        .size:           8
        .value_kind:     global_buffer
      - .offset:         8
        .size:           8
        .value_kind:     by_value
      - .offset:         16
        .size:           8
        .value_kind:     by_value
      - .offset:         24
        .size:           4
        .value_kind:     hidden_block_count_x
      - .offset:         28
        .size:           4
        .value_kind:     hidden_block_count_y
      - .offset:         32
        .size:           4
        .value_kind:     hidden_block_count_z
      - .offset:         36
        .size:           2
        .value_kind:     hidden_group_size_x
      - .offset:         38
        .size:           2
        .value_kind:     hidden_group_size_y
      - .offset:         40
        .size:           2
        .value_kind:     hidden_group_size_z
      - .offset:         42
        .size:           2
        .value_kind:     hidden_remainder_x
      - .offset:         44
        .size:           2
        .value_kind:     hidden_remainder_y
      - .offset:         46
        .size:           2
        .value_kind:     hidden_remainder_z
      - .offset:         64
        .size:           8
        .value_kind:     hidden_global_offset_x
      - .offset:         72
        .size:           8
        .value_kind:     hidden_global_offset_y
      - .offset:         80
        .size:           8
        .value_kind:     hidden_global_offset_z
      - .offset:         88
        .size:           2
        .value_kind:     hidden_grid_dims
      - .offset:         144
        .size:           4
        .value_kind:     hidden_dynamic_lds_size
    .group_segment_fixed_size: 0
    .kernarg_segment_align: 8
    .kernarg_segment_size: 280
    .language:       OpenCL C
    .language_version:
      - 2
      - 0
    .max_flat_workgroup_size: 1024
    .name:           _ZN2at6native12_GLOBAL__N_112renormRowsL1IN3c104HalfEEEvPT_ll
    .private_segment_fixed_size: 0
    .sgpr_count:     64
    .sgpr_spill_count: 0
    .symbol:         _ZN2at6native12_GLOBAL__N_112renormRowsL1IN3c104HalfEEEvPT_ll.kd
    .uniform_work_group_size: 1
    .uses_dynamic_stack: false
    .vgpr_count:     41
    .vgpr_spill_count: 0
    .wavefront_size: 64
  - .agpr_count:     0
    .args:
      - .address_space:  global
        .offset:         0
        .size:           8
        .value_kind:     global_buffer
      - .offset:         8
        .size:           8
        .value_kind:     by_value
      - .offset:         16
        .size:           8
        .value_kind:     by_value
      - .offset:         24
        .size:           4
        .value_kind:     hidden_block_count_x
      - .offset:         28
        .size:           4
        .value_kind:     hidden_block_count_y
      - .offset:         32
        .size:           4
        .value_kind:     hidden_block_count_z
      - .offset:         36
        .size:           2
        .value_kind:     hidden_group_size_x
      - .offset:         38
        .size:           2
        .value_kind:     hidden_group_size_y
      - .offset:         40
        .size:           2
        .value_kind:     hidden_group_size_z
      - .offset:         42
        .size:           2
        .value_kind:     hidden_remainder_x
      - .offset:         44
        .size:           2
        .value_kind:     hidden_remainder_y
      - .offset:         46
        .size:           2
        .value_kind:     hidden_remainder_z
      - .offset:         64
        .size:           8
        .value_kind:     hidden_global_offset_x
      - .offset:         72
        .size:           8
        .value_kind:     hidden_global_offset_y
      - .offset:         80
        .size:           8
        .value_kind:     hidden_global_offset_z
      - .offset:         88
        .size:           2
        .value_kind:     hidden_grid_dims
      - .offset:         144
        .size:           4
        .value_kind:     hidden_dynamic_lds_size
    .group_segment_fixed_size: 0
    .kernarg_segment_align: 8
    .kernarg_segment_size: 280
    .language:       OpenCL C
    .language_version:
      - 2
      - 0
    .max_flat_workgroup_size: 1024
    .name:           _ZN2at6native12_GLOBAL__N_112renormRowsL1IN3c108BFloat16EEEvPT_ll
    .private_segment_fixed_size: 0
    .sgpr_count:     64
    .sgpr_spill_count: 0
    .symbol:         _ZN2at6native12_GLOBAL__N_112renormRowsL1IN3c108BFloat16EEEvPT_ll.kd
    .uniform_work_group_size: 1
    .uses_dynamic_stack: false
    .vgpr_count:     46
    .vgpr_spill_count: 0
    .wavefront_size: 64
  - .agpr_count:     0
    .args:
      - .address_space:  global
        .offset:         0
        .size:           8
        .value_kind:     global_buffer
      - .offset:         8
        .size:           8
        .value_kind:     by_value
      - .offset:         16
        .size:           4
        .value_kind:     by_value
      - .address_space:  global
        .offset:         24
        .size:           8
        .value_kind:     global_buffer
      - .address_space:  global
        .offset:         32
        .size:           8
        .value_kind:     global_buffer
      - .offset:         40
        .size:           4
        .value_kind:     by_value
      - .offset:         44
        .size:           4
        .value_kind:     by_value
      - .offset:         48
        .size:           4
        .value_kind:     hidden_block_count_x
      - .offset:         52
        .size:           4
        .value_kind:     hidden_block_count_y
      - .offset:         56
        .size:           4
        .value_kind:     hidden_block_count_z
      - .offset:         60
        .size:           2
        .value_kind:     hidden_group_size_x
      - .offset:         62
        .size:           2
        .value_kind:     hidden_group_size_y
      - .offset:         64
        .size:           2
        .value_kind:     hidden_group_size_z
      - .offset:         66
        .size:           2
        .value_kind:     hidden_remainder_x
      - .offset:         68
        .size:           2
        .value_kind:     hidden_remainder_y
      - .offset:         70
        .size:           2
        .value_kind:     hidden_remainder_z
      - .offset:         88
        .size:           8
        .value_kind:     hidden_global_offset_x
      - .offset:         96
        .size:           8
        .value_kind:     hidden_global_offset_y
      - .offset:         104
        .size:           8
        .value_kind:     hidden_global_offset_z
      - .offset:         112
        .size:           2
        .value_kind:     hidden_grid_dims
      - .offset:         168
        .size:           4
        .value_kind:     hidden_dynamic_lds_size
    .group_segment_fixed_size: 8
    .kernarg_segment_align: 8
    .kernarg_segment_size: 304
    .language:       OpenCL C
    .language_version:
      - 2
      - 0
    .max_flat_workgroup_size: 1024
    .name:           _ZN2at6native12_GLOBAL__N_121sampleMultinomialOnceIddEEvPlliPKT_S6_ii
    .private_segment_fixed_size: 0
    .sgpr_count:     100
    .sgpr_spill_count: 6
    .symbol:         _ZN2at6native12_GLOBAL__N_121sampleMultinomialOnceIddEEvPlliPKT_S6_ii.kd
    .uniform_work_group_size: 1
    .uses_dynamic_stack: false
    .vgpr_count:     33
    .vgpr_spill_count: 0
    .wavefront_size: 64
  - .agpr_count:     0
    .args:
      - .offset:         0
        .size:           32
        .value_kind:     by_value
      - .offset:         32
        .size:           4
        .value_kind:     by_value
      - .address_space:  global
        .offset:         40
        .size:           8
        .value_kind:     global_buffer
      - .offset:         48
        .size:           8
        .value_kind:     by_value
      - .offset:         56
        .size:           4
        .value_kind:     by_value
      - .address_space:  global
        .offset:         64
        .size:           8
        .value_kind:     global_buffer
      - .address_space:  global
        .offset:         72
        .size:           8
        .value_kind:     global_buffer
      - .offset:         80
        .size:           4
        .value_kind:     hidden_block_count_x
      - .offset:         84
        .size:           4
        .value_kind:     hidden_block_count_y
      - .offset:         88
        .size:           4
        .value_kind:     hidden_block_count_z
      - .offset:         92
        .size:           2
        .value_kind:     hidden_group_size_x
      - .offset:         94
        .size:           2
        .value_kind:     hidden_group_size_y
      - .offset:         96
        .size:           2
        .value_kind:     hidden_group_size_z
      - .offset:         98
        .size:           2
        .value_kind:     hidden_remainder_x
      - .offset:         100
        .size:           2
        .value_kind:     hidden_remainder_y
      - .offset:         102
        .size:           2
        .value_kind:     hidden_remainder_z
      - .offset:         120
        .size:           8
        .value_kind:     hidden_global_offset_x
      - .offset:         128
        .size:           8
        .value_kind:     hidden_global_offset_y
      - .offset:         136
        .size:           8
        .value_kind:     hidden_global_offset_z
      - .offset:         144
        .size:           2
        .value_kind:     hidden_grid_dims
    .group_segment_fixed_size: 0
    .kernarg_segment_align: 8
    .kernarg_segment_size: 336
    .language:       OpenCL C
    .language_version:
      - 2
      - 0
    .max_flat_workgroup_size: 1024
    .name:           _ZN2at6native12_GLOBAL__N_132sampleMultinomialWithReplacementIdEEvNS_15PhiloxCudaStateEiPlliPKT_S7_
    .private_segment_fixed_size: 0
    .sgpr_count:     64
    .sgpr_spill_count: 0
    .symbol:         _ZN2at6native12_GLOBAL__N_132sampleMultinomialWithReplacementIdEEvNS_15PhiloxCudaStateEiPlliPKT_S7_.kd
    .uniform_work_group_size: 1
    .uses_dynamic_stack: false
    .vgpr_count:     44
    .vgpr_spill_count: 0
    .wavefront_size: 64
  - .agpr_count:     0
    .args:
      - .address_space:  global
        .offset:         0
        .size:           8
        .value_kind:     global_buffer
      - .offset:         8
        .size:           8
        .value_kind:     by_value
      - .offset:         16
        .size:           4
        .value_kind:     by_value
      - .address_space:  global
        .offset:         24
        .size:           8
        .value_kind:     global_buffer
      - .address_space:  global
        .offset:         32
        .size:           8
        .value_kind:     global_buffer
      - .offset:         40
        .size:           4
        .value_kind:     by_value
      - .offset:         44
        .size:           4
        .value_kind:     by_value
      - .offset:         48
        .size:           4
        .value_kind:     hidden_block_count_x
      - .offset:         52
        .size:           4
        .value_kind:     hidden_block_count_y
      - .offset:         56
        .size:           4
        .value_kind:     hidden_block_count_z
      - .offset:         60
        .size:           2
        .value_kind:     hidden_group_size_x
      - .offset:         62
        .size:           2
        .value_kind:     hidden_group_size_y
      - .offset:         64
        .size:           2
        .value_kind:     hidden_group_size_z
      - .offset:         66
        .size:           2
        .value_kind:     hidden_remainder_x
      - .offset:         68
        .size:           2
        .value_kind:     hidden_remainder_y
      - .offset:         70
        .size:           2
        .value_kind:     hidden_remainder_z
      - .offset:         88
        .size:           8
        .value_kind:     hidden_global_offset_x
      - .offset:         96
        .size:           8
        .value_kind:     hidden_global_offset_y
      - .offset:         104
        .size:           8
        .value_kind:     hidden_global_offset_z
      - .offset:         112
        .size:           2
        .value_kind:     hidden_grid_dims
      - .offset:         168
        .size:           4
        .value_kind:     hidden_dynamic_lds_size
    .group_segment_fixed_size: 8
    .kernarg_segment_align: 8
    .kernarg_segment_size: 304
    .language:       OpenCL C
    .language_version:
      - 2
      - 0
    .max_flat_workgroup_size: 1024
    .name:           _ZN2at6native12_GLOBAL__N_121sampleMultinomialOnceIffEEvPlliPKT_S6_ii
    .private_segment_fixed_size: 0
    .sgpr_count:     100
    .sgpr_spill_count: 6
    .symbol:         _ZN2at6native12_GLOBAL__N_121sampleMultinomialOnceIffEEvPlliPKT_S6_ii.kd
    .uniform_work_group_size: 1
    .uses_dynamic_stack: false
    .vgpr_count:     23
    .vgpr_spill_count: 0
    .wavefront_size: 64
  - .agpr_count:     0
    .args:
      - .offset:         0
        .size:           32
        .value_kind:     by_value
      - .offset:         32
        .size:           4
        .value_kind:     by_value
      - .address_space:  global
        .offset:         40
        .size:           8
        .value_kind:     global_buffer
      - .offset:         48
        .size:           8
        .value_kind:     by_value
      - .offset:         56
        .size:           4
        .value_kind:     by_value
      - .address_space:  global
        .offset:         64
        .size:           8
        .value_kind:     global_buffer
      - .address_space:  global
        .offset:         72
        .size:           8
        .value_kind:     global_buffer
      - .offset:         80
        .size:           4
        .value_kind:     hidden_block_count_x
      - .offset:         84
        .size:           4
        .value_kind:     hidden_block_count_y
      - .offset:         88
        .size:           4
        .value_kind:     hidden_block_count_z
      - .offset:         92
        .size:           2
        .value_kind:     hidden_group_size_x
      - .offset:         94
        .size:           2
        .value_kind:     hidden_group_size_y
      - .offset:         96
        .size:           2
        .value_kind:     hidden_group_size_z
      - .offset:         98
        .size:           2
        .value_kind:     hidden_remainder_x
      - .offset:         100
        .size:           2
        .value_kind:     hidden_remainder_y
      - .offset:         102
        .size:           2
        .value_kind:     hidden_remainder_z
      - .offset:         120
        .size:           8
        .value_kind:     hidden_global_offset_x
      - .offset:         128
        .size:           8
        .value_kind:     hidden_global_offset_y
      - .offset:         136
        .size:           8
        .value_kind:     hidden_global_offset_z
      - .offset:         144
        .size:           2
        .value_kind:     hidden_grid_dims
    .group_segment_fixed_size: 0
    .kernarg_segment_align: 8
    .kernarg_segment_size: 336
    .language:       OpenCL C
    .language_version:
      - 2
      - 0
    .max_flat_workgroup_size: 1024
    .name:           _ZN2at6native12_GLOBAL__N_132sampleMultinomialWithReplacementIfEEvNS_15PhiloxCudaStateEiPlliPKT_S7_
    .private_segment_fixed_size: 0
    .sgpr_count:     64
    .sgpr_spill_count: 0
    .symbol:         _ZN2at6native12_GLOBAL__N_132sampleMultinomialWithReplacementIfEEvNS_15PhiloxCudaStateEiPlliPKT_S7_.kd
    .uniform_work_group_size: 1
    .uses_dynamic_stack: false
    .vgpr_count:     44
    .vgpr_spill_count: 0
    .wavefront_size: 64
  - .agpr_count:     0
    .args:
      - .address_space:  global
        .offset:         0
        .size:           8
        .value_kind:     global_buffer
      - .offset:         8
        .size:           8
        .value_kind:     by_value
      - .offset:         16
        .size:           4
        .value_kind:     by_value
      - .address_space:  global
        .offset:         24
        .size:           8
        .value_kind:     global_buffer
      - .address_space:  global
        .offset:         32
        .size:           8
        .value_kind:     global_buffer
      - .offset:         40
        .size:           4
        .value_kind:     by_value
      - .offset:         44
        .size:           4
        .value_kind:     by_value
      - .offset:         48
        .size:           4
        .value_kind:     hidden_block_count_x
      - .offset:         52
        .size:           4
        .value_kind:     hidden_block_count_y
      - .offset:         56
        .size:           4
        .value_kind:     hidden_block_count_z
      - .offset:         60
        .size:           2
        .value_kind:     hidden_group_size_x
      - .offset:         62
        .size:           2
        .value_kind:     hidden_group_size_y
      - .offset:         64
        .size:           2
        .value_kind:     hidden_group_size_z
      - .offset:         66
        .size:           2
        .value_kind:     hidden_remainder_x
      - .offset:         68
        .size:           2
        .value_kind:     hidden_remainder_y
      - .offset:         70
        .size:           2
        .value_kind:     hidden_remainder_z
      - .offset:         88
        .size:           8
        .value_kind:     hidden_global_offset_x
      - .offset:         96
        .size:           8
        .value_kind:     hidden_global_offset_y
      - .offset:         104
        .size:           8
        .value_kind:     hidden_global_offset_z
      - .offset:         112
        .size:           2
        .value_kind:     hidden_grid_dims
      - .offset:         168
        .size:           4
        .value_kind:     hidden_dynamic_lds_size
    .group_segment_fixed_size: 8
    .kernarg_segment_align: 8
    .kernarg_segment_size: 304
    .language:       OpenCL C
    .language_version:
      - 2
      - 0
    .max_flat_workgroup_size: 1024
    .name:           _ZN2at6native12_GLOBAL__N_121sampleMultinomialOnceIN3c104HalfEfEEvPlliPKT_S8_ii
    .private_segment_fixed_size: 0
    .sgpr_count:     100
    .sgpr_spill_count: 6
    .symbol:         _ZN2at6native12_GLOBAL__N_121sampleMultinomialOnceIN3c104HalfEfEEvPlliPKT_S8_ii.kd
    .uniform_work_group_size: 1
    .uses_dynamic_stack: false
    .vgpr_count:     23
    .vgpr_spill_count: 0
    .wavefront_size: 64
  - .agpr_count:     0
    .args:
      - .offset:         0
        .size:           32
        .value_kind:     by_value
      - .offset:         32
        .size:           4
        .value_kind:     by_value
      - .address_space:  global
        .offset:         40
        .size:           8
        .value_kind:     global_buffer
      - .offset:         48
        .size:           8
        .value_kind:     by_value
      - .offset:         56
        .size:           4
        .value_kind:     by_value
      - .address_space:  global
        .offset:         64
        .size:           8
        .value_kind:     global_buffer
      - .address_space:  global
        .offset:         72
        .size:           8
        .value_kind:     global_buffer
      - .offset:         80
        .size:           4
        .value_kind:     hidden_block_count_x
      - .offset:         84
        .size:           4
        .value_kind:     hidden_block_count_y
      - .offset:         88
        .size:           4
        .value_kind:     hidden_block_count_z
      - .offset:         92
        .size:           2
        .value_kind:     hidden_group_size_x
      - .offset:         94
        .size:           2
        .value_kind:     hidden_group_size_y
      - .offset:         96
        .size:           2
        .value_kind:     hidden_group_size_z
      - .offset:         98
        .size:           2
        .value_kind:     hidden_remainder_x
      - .offset:         100
        .size:           2
        .value_kind:     hidden_remainder_y
      - .offset:         102
        .size:           2
        .value_kind:     hidden_remainder_z
      - .offset:         120
        .size:           8
        .value_kind:     hidden_global_offset_x
      - .offset:         128
        .size:           8
        .value_kind:     hidden_global_offset_y
      - .offset:         136
        .size:           8
        .value_kind:     hidden_global_offset_z
      - .offset:         144
        .size:           2
        .value_kind:     hidden_grid_dims
    .group_segment_fixed_size: 0
    .kernarg_segment_align: 8
    .kernarg_segment_size: 336
    .language:       OpenCL C
    .language_version:
      - 2
      - 0
    .max_flat_workgroup_size: 1024
    .name:           _ZN2at6native12_GLOBAL__N_132sampleMultinomialWithReplacementIN3c104HalfEEEvNS_15PhiloxCudaStateEiPlliPKT_S9_
    .private_segment_fixed_size: 0
    .sgpr_count:     64
    .sgpr_spill_count: 0
    .symbol:         _ZN2at6native12_GLOBAL__N_132sampleMultinomialWithReplacementIN3c104HalfEEEvNS_15PhiloxCudaStateEiPlliPKT_S9_.kd
    .uniform_work_group_size: 1
    .uses_dynamic_stack: false
    .vgpr_count:     44
    .vgpr_spill_count: 0
    .wavefront_size: 64
  - .agpr_count:     0
    .args:
      - .address_space:  global
        .offset:         0
        .size:           8
        .value_kind:     global_buffer
      - .offset:         8
        .size:           8
        .value_kind:     by_value
      - .offset:         16
        .size:           4
        .value_kind:     by_value
      - .address_space:  global
        .offset:         24
        .size:           8
        .value_kind:     global_buffer
      - .address_space:  global
        .offset:         32
        .size:           8
        .value_kind:     global_buffer
      - .offset:         40
        .size:           4
        .value_kind:     by_value
      - .offset:         44
        .size:           4
        .value_kind:     by_value
      - .offset:         48
        .size:           4
        .value_kind:     hidden_block_count_x
      - .offset:         52
        .size:           4
        .value_kind:     hidden_block_count_y
      - .offset:         56
        .size:           4
        .value_kind:     hidden_block_count_z
      - .offset:         60
        .size:           2
        .value_kind:     hidden_group_size_x
      - .offset:         62
        .size:           2
        .value_kind:     hidden_group_size_y
      - .offset:         64
        .size:           2
        .value_kind:     hidden_group_size_z
      - .offset:         66
        .size:           2
        .value_kind:     hidden_remainder_x
      - .offset:         68
        .size:           2
        .value_kind:     hidden_remainder_y
      - .offset:         70
        .size:           2
        .value_kind:     hidden_remainder_z
      - .offset:         88
        .size:           8
        .value_kind:     hidden_global_offset_x
      - .offset:         96
        .size:           8
        .value_kind:     hidden_global_offset_y
      - .offset:         104
        .size:           8
        .value_kind:     hidden_global_offset_z
      - .offset:         112
        .size:           2
        .value_kind:     hidden_grid_dims
      - .offset:         168
        .size:           4
        .value_kind:     hidden_dynamic_lds_size
    .group_segment_fixed_size: 8
    .kernarg_segment_align: 8
    .kernarg_segment_size: 304
    .language:       OpenCL C
    .language_version:
      - 2
      - 0
    .max_flat_workgroup_size: 1024
    .name:           _ZN2at6native12_GLOBAL__N_121sampleMultinomialOnceIN3c108BFloat16EfEEvPlliPKT_S8_ii
    .private_segment_fixed_size: 0
    .sgpr_count:     100
    .sgpr_spill_count: 6
    .symbol:         _ZN2at6native12_GLOBAL__N_121sampleMultinomialOnceIN3c108BFloat16EfEEvPlliPKT_S8_ii.kd
    .uniform_work_group_size: 1
    .uses_dynamic_stack: false
    .vgpr_count:     24
    .vgpr_spill_count: 0
    .wavefront_size: 64
  - .agpr_count:     0
    .args:
      - .offset:         0
        .size:           32
        .value_kind:     by_value
      - .offset:         32
        .size:           4
        .value_kind:     by_value
      - .address_space:  global
        .offset:         40
        .size:           8
        .value_kind:     global_buffer
      - .offset:         48
        .size:           8
        .value_kind:     by_value
      - .offset:         56
        .size:           4
        .value_kind:     by_value
      - .address_space:  global
        .offset:         64
        .size:           8
        .value_kind:     global_buffer
      - .address_space:  global
        .offset:         72
        .size:           8
        .value_kind:     global_buffer
      - .offset:         80
        .size:           4
        .value_kind:     hidden_block_count_x
      - .offset:         84
        .size:           4
        .value_kind:     hidden_block_count_y
      - .offset:         88
        .size:           4
        .value_kind:     hidden_block_count_z
      - .offset:         92
        .size:           2
        .value_kind:     hidden_group_size_x
      - .offset:         94
        .size:           2
        .value_kind:     hidden_group_size_y
      - .offset:         96
        .size:           2
        .value_kind:     hidden_group_size_z
      - .offset:         98
        .size:           2
        .value_kind:     hidden_remainder_x
      - .offset:         100
        .size:           2
        .value_kind:     hidden_remainder_y
      - .offset:         102
        .size:           2
        .value_kind:     hidden_remainder_z
      - .offset:         120
        .size:           8
        .value_kind:     hidden_global_offset_x
      - .offset:         128
        .size:           8
        .value_kind:     hidden_global_offset_y
      - .offset:         136
        .size:           8
        .value_kind:     hidden_global_offset_z
      - .offset:         144
        .size:           2
        .value_kind:     hidden_grid_dims
    .group_segment_fixed_size: 0
    .kernarg_segment_align: 8
    .kernarg_segment_size: 336
    .language:       OpenCL C
    .language_version:
      - 2
      - 0
    .max_flat_workgroup_size: 1024
    .name:           _ZN2at6native12_GLOBAL__N_132sampleMultinomialWithReplacementIN3c108BFloat16EEEvNS_15PhiloxCudaStateEiPlliPKT_S9_
    .private_segment_fixed_size: 0
    .sgpr_count:     62
    .sgpr_spill_count: 0
    .symbol:         _ZN2at6native12_GLOBAL__N_132sampleMultinomialWithReplacementIN3c108BFloat16EEEvNS_15PhiloxCudaStateEiPlliPKT_S9_.kd
    .uniform_work_group_size: 1
    .uses_dynamic_stack: false
    .vgpr_count:     44
    .vgpr_spill_count: 0
    .wavefront_size: 64
amdhsa.target:   amdgcn-amd-amdhsa--gfx90a
amdhsa.version:
  - 1
  - 2
...

	.end_amdgpu_metadata
